;; amdgpu-corpus repo=ROCm/rocFFT kind=compiled arch=gfx950 opt=O3
	.text
	.amdgcn_target "amdgcn-amd-amdhsa--gfx950"
	.amdhsa_code_object_version 6
	.protected	fft_rtc_back_len1870_factors_17_10_11_wgs_187_tpt_187_halfLds_sp_ip_CI_sbrr_dirReg ; -- Begin function fft_rtc_back_len1870_factors_17_10_11_wgs_187_tpt_187_halfLds_sp_ip_CI_sbrr_dirReg
	.globl	fft_rtc_back_len1870_factors_17_10_11_wgs_187_tpt_187_halfLds_sp_ip_CI_sbrr_dirReg
	.p2align	8
	.type	fft_rtc_back_len1870_factors_17_10_11_wgs_187_tpt_187_halfLds_sp_ip_CI_sbrr_dirReg,@function
fft_rtc_back_len1870_factors_17_10_11_wgs_187_tpt_187_halfLds_sp_ip_CI_sbrr_dirReg: ; @fft_rtc_back_len1870_factors_17_10_11_wgs_187_tpt_187_halfLds_sp_ip_CI_sbrr_dirReg
; %bb.0:
	s_load_dwordx2 s[12:13], s[0:1], 0x18
	s_load_dwordx4 s[4:7], s[0:1], 0x0
	s_load_dwordx2 s[10:11], s[0:1], 0x50
	v_mul_u32_u24_e32 v1, 0x15f, v0
	v_add_u32_sdwa v6, s2, v1 dst_sel:DWORD dst_unused:UNUSED_PAD src0_sel:DWORD src1_sel:WORD_1
	s_waitcnt lgkmcnt(0)
	s_load_dwordx2 s[8:9], s[12:13], 0x0
	v_mov_b32_e32 v4, 0
	v_cmp_lt_u64_e64 s[2:3], s[6:7], 2
	v_mov_b32_e32 v7, v4
	s_and_b64 vcc, exec, s[2:3]
	v_mov_b64_e32 v[2:3], 0
	s_cbranch_vccnz .LBB0_8
; %bb.1:
	s_load_dwordx2 s[2:3], s[0:1], 0x10
	s_add_u32 s14, s12, 8
	s_addc_u32 s15, s13, 0
	s_mov_b64 s[16:17], 1
	v_mov_b64_e32 v[2:3], 0
	s_waitcnt lgkmcnt(0)
	s_add_u32 s18, s2, 8
	s_addc_u32 s19, s3, 0
.LBB0_2:                                ; =>This Inner Loop Header: Depth=1
	s_load_dwordx2 s[20:21], s[18:19], 0x0
                                        ; implicit-def: $vgpr8_vgpr9
	s_waitcnt lgkmcnt(0)
	v_or_b32_e32 v5, s21, v7
	v_cmp_ne_u64_e32 vcc, 0, v[4:5]
	s_and_saveexec_b64 s[2:3], vcc
	s_xor_b64 s[22:23], exec, s[2:3]
	s_cbranch_execz .LBB0_4
; %bb.3:                                ;   in Loop: Header=BB0_2 Depth=1
	v_cvt_f32_u32_e32 v1, s20
	v_cvt_f32_u32_e32 v5, s21
	s_sub_u32 s2, 0, s20
	s_subb_u32 s3, 0, s21
	v_fmac_f32_e32 v1, 0x4f800000, v5
	v_rcp_f32_e32 v1, v1
	s_nop 0
	v_mul_f32_e32 v1, 0x5f7ffffc, v1
	v_mul_f32_e32 v5, 0x2f800000, v1
	v_trunc_f32_e32 v5, v5
	v_fmac_f32_e32 v1, 0xcf800000, v5
	v_cvt_u32_f32_e32 v5, v5
	v_cvt_u32_f32_e32 v1, v1
	v_mul_lo_u32 v8, s2, v5
	v_mul_hi_u32 v10, s2, v1
	v_mul_lo_u32 v9, s3, v1
	v_add_u32_e32 v10, v10, v8
	v_mul_lo_u32 v12, s2, v1
	v_add_u32_e32 v13, v10, v9
	v_mul_hi_u32 v8, v1, v12
	v_mul_hi_u32 v11, v1, v13
	v_mul_lo_u32 v10, v1, v13
	v_mov_b32_e32 v9, v4
	v_lshl_add_u64 v[8:9], v[8:9], 0, v[10:11]
	v_mul_hi_u32 v11, v5, v12
	v_mul_lo_u32 v12, v5, v12
	v_add_co_u32_e32 v8, vcc, v8, v12
	v_mul_hi_u32 v10, v5, v13
	s_nop 0
	v_addc_co_u32_e32 v8, vcc, v9, v11, vcc
	v_mov_b32_e32 v9, v4
	s_nop 0
	v_addc_co_u32_e32 v11, vcc, 0, v10, vcc
	v_mul_lo_u32 v10, v5, v13
	v_lshl_add_u64 v[8:9], v[8:9], 0, v[10:11]
	v_add_co_u32_e32 v1, vcc, v1, v8
	v_mul_lo_u32 v10, s2, v1
	s_nop 0
	v_addc_co_u32_e32 v5, vcc, v5, v9, vcc
	v_mul_lo_u32 v8, s2, v5
	v_mul_hi_u32 v9, s2, v1
	v_add_u32_e32 v8, v9, v8
	v_mul_lo_u32 v9, s3, v1
	v_add_u32_e32 v12, v8, v9
	v_mul_hi_u32 v14, v5, v10
	v_mul_lo_u32 v15, v5, v10
	v_mul_hi_u32 v9, v1, v12
	v_mul_lo_u32 v8, v1, v12
	v_mul_hi_u32 v10, v1, v10
	v_mov_b32_e32 v11, v4
	v_lshl_add_u64 v[8:9], v[10:11], 0, v[8:9]
	v_add_co_u32_e32 v8, vcc, v8, v15
	v_mul_hi_u32 v13, v5, v12
	s_nop 0
	v_addc_co_u32_e32 v8, vcc, v9, v14, vcc
	v_mul_lo_u32 v10, v5, v12
	s_nop 0
	v_addc_co_u32_e32 v11, vcc, 0, v13, vcc
	v_mov_b32_e32 v9, v4
	v_lshl_add_u64 v[8:9], v[8:9], 0, v[10:11]
	v_add_co_u32_e32 v1, vcc, v1, v8
	v_mul_hi_u32 v10, v6, v1
	s_nop 0
	v_addc_co_u32_e32 v5, vcc, v5, v9, vcc
	v_mad_u64_u32 v[8:9], s[2:3], v6, v5, 0
	v_mov_b32_e32 v11, v4
	v_lshl_add_u64 v[8:9], v[10:11], 0, v[8:9]
	v_mad_u64_u32 v[12:13], s[2:3], v7, v1, 0
	v_add_co_u32_e32 v1, vcc, v8, v12
	v_mad_u64_u32 v[10:11], s[2:3], v7, v5, 0
	s_nop 0
	v_addc_co_u32_e32 v8, vcc, v9, v13, vcc
	v_mov_b32_e32 v9, v4
	s_nop 0
	v_addc_co_u32_e32 v11, vcc, 0, v11, vcc
	v_lshl_add_u64 v[8:9], v[8:9], 0, v[10:11]
	v_mul_lo_u32 v1, s21, v8
	v_mul_lo_u32 v5, s20, v9
	v_mad_u64_u32 v[10:11], s[2:3], s20, v8, 0
	v_add3_u32 v1, v11, v5, v1
	v_sub_u32_e32 v5, v7, v1
	v_mov_b32_e32 v11, s21
	v_sub_co_u32_e32 v14, vcc, v6, v10
	v_lshl_add_u64 v[12:13], v[8:9], 0, 1
	s_nop 0
	v_subb_co_u32_e64 v5, s[2:3], v5, v11, vcc
	v_subrev_co_u32_e64 v10, s[2:3], s20, v14
	v_subb_co_u32_e32 v1, vcc, v7, v1, vcc
	s_nop 0
	v_subbrev_co_u32_e64 v5, s[2:3], 0, v5, s[2:3]
	v_cmp_le_u32_e64 s[2:3], s21, v5
	v_cmp_le_u32_e32 vcc, s21, v1
	s_nop 0
	v_cndmask_b32_e64 v11, 0, -1, s[2:3]
	v_cmp_le_u32_e64 s[2:3], s20, v10
	s_nop 1
	v_cndmask_b32_e64 v10, 0, -1, s[2:3]
	v_cmp_eq_u32_e64 s[2:3], s21, v5
	s_nop 1
	v_cndmask_b32_e64 v5, v11, v10, s[2:3]
	v_lshl_add_u64 v[10:11], v[8:9], 0, 2
	v_cmp_ne_u32_e64 s[2:3], 0, v5
	s_nop 1
	v_cndmask_b32_e64 v5, v13, v11, s[2:3]
	v_cndmask_b32_e64 v11, 0, -1, vcc
	v_cmp_le_u32_e32 vcc, s20, v14
	s_nop 1
	v_cndmask_b32_e64 v13, 0, -1, vcc
	v_cmp_eq_u32_e32 vcc, s21, v1
	s_nop 1
	v_cndmask_b32_e32 v1, v11, v13, vcc
	v_cmp_ne_u32_e32 vcc, 0, v1
	v_cndmask_b32_e64 v1, v12, v10, s[2:3]
	s_nop 0
	v_cndmask_b32_e32 v9, v9, v5, vcc
	v_cndmask_b32_e32 v8, v8, v1, vcc
.LBB0_4:                                ;   in Loop: Header=BB0_2 Depth=1
	s_andn2_saveexec_b64 s[2:3], s[22:23]
	s_cbranch_execz .LBB0_6
; %bb.5:                                ;   in Loop: Header=BB0_2 Depth=1
	v_cvt_f32_u32_e32 v1, s20
	s_sub_i32 s22, 0, s20
	v_rcp_iflag_f32_e32 v1, v1
	s_nop 0
	v_mul_f32_e32 v1, 0x4f7ffffe, v1
	v_cvt_u32_f32_e32 v1, v1
	v_mul_lo_u32 v5, s22, v1
	v_mul_hi_u32 v5, v1, v5
	v_add_u32_e32 v1, v1, v5
	v_mul_hi_u32 v1, v6, v1
	v_mul_lo_u32 v5, v1, s20
	v_sub_u32_e32 v5, v6, v5
	v_add_u32_e32 v8, 1, v1
	v_subrev_u32_e32 v9, s20, v5
	v_cmp_le_u32_e32 vcc, s20, v5
	s_nop 1
	v_cndmask_b32_e32 v5, v5, v9, vcc
	v_cndmask_b32_e32 v1, v1, v8, vcc
	v_add_u32_e32 v8, 1, v1
	v_cmp_le_u32_e32 vcc, s20, v5
	v_mov_b32_e32 v9, v4
	s_nop 0
	v_cndmask_b32_e32 v8, v1, v8, vcc
.LBB0_6:                                ;   in Loop: Header=BB0_2 Depth=1
	s_or_b64 exec, exec, s[2:3]
	v_mad_u64_u32 v[10:11], s[2:3], v8, s20, 0
	s_load_dwordx2 s[2:3], s[14:15], 0x0
	v_mul_lo_u32 v1, v9, s20
	v_mul_lo_u32 v5, v8, s21
	v_add3_u32 v1, v11, v5, v1
	v_sub_co_u32_e32 v5, vcc, v6, v10
	s_add_u32 s16, s16, 1
	s_nop 0
	v_subb_co_u32_e32 v1, vcc, v7, v1, vcc
	s_addc_u32 s17, s17, 0
	s_waitcnt lgkmcnt(0)
	v_mul_lo_u32 v1, s2, v1
	v_mul_lo_u32 v6, s3, v5
	v_mad_u64_u32 v[2:3], s[2:3], s2, v5, v[2:3]
	s_add_u32 s14, s14, 8
	v_add3_u32 v3, v6, v3, v1
	s_addc_u32 s15, s15, 0
	v_mov_b64_e32 v[6:7], s[6:7]
	s_add_u32 s18, s18, 8
	v_cmp_ge_u64_e32 vcc, s[16:17], v[6:7]
	s_addc_u32 s19, s19, 0
	s_cbranch_vccnz .LBB0_9
; %bb.7:                                ;   in Loop: Header=BB0_2 Depth=1
	v_mov_b64_e32 v[6:7], v[8:9]
	s_branch .LBB0_2
.LBB0_8:
	v_mov_b64_e32 v[8:9], v[6:7]
.LBB0_9:
	s_lshl_b64 s[2:3], s[6:7], 3
	s_add_u32 s2, s12, s2
	s_addc_u32 s3, s13, s3
	s_load_dwordx2 s[6:7], s[2:3], 0x0
	s_load_dwordx2 s[12:13], s[0:1], 0x20
	v_mov_b32_e32 v25, 0
	v_mov_b32_e32 v70, 0
                                        ; implicit-def: $vgpr62
                                        ; implicit-def: $vgpr18
                                        ; implicit-def: $vgpr6
                                        ; implicit-def: $vgpr56
                                        ; implicit-def: $vgpr58
                                        ; implicit-def: $vgpr22
                                        ; implicit-def: $vgpr60
                                        ; implicit-def: $vgpr14
                                        ; implicit-def: $vgpr64
                                        ; implicit-def: $vgpr16
                                        ; implicit-def: $vgpr66
                                        ; implicit-def: $vgpr20
                                        ; implicit-def: $vgpr10
                                        ; implicit-def: $vgpr12
	s_waitcnt lgkmcnt(0)
	v_mad_u64_u32 v[2:3], s[0:1], s6, v8, v[2:3]
	v_mul_lo_u32 v1, s6, v9
	v_mul_lo_u32 v4, s7, v8
	s_mov_b32 s0, 0x15e75bc
	v_add3_u32 v3, v4, v3, v1
	v_mul_hi_u32 v1, v0, s0
	v_mul_u32_u24_e32 v1, 0xbb, v1
	v_sub_u32_e32 v120, v0, v1
	s_movk_i32 s0, 0x6e
	v_cmp_gt_u64_e32 vcc, s[12:13], v[8:9]
	v_cmp_gt_u32_e64 s[0:1], s0, v120
	s_and_b64 s[6:7], vcc, s[0:1]
	v_lshl_add_u64 v[0:1], v[2:3], 3, s[10:11]
                                        ; implicit-def: $vgpr8
                                        ; implicit-def: $vgpr4
	s_and_saveexec_b64 s[2:3], s[6:7]
	s_cbranch_execz .LBB0_11
; %bb.10:
	v_mad_u64_u32 v[2:3], s[6:7], s8, v120, 0
	v_mov_b32_e32 v4, v3
	v_mad_u64_u32 v[4:5], s[6:7], s9, v120, v[4:5]
	v_add_u32_e32 v7, 0x6e, v120
	v_mov_b32_e32 v3, v4
	v_mad_u64_u32 v[4:5], s[6:7], s8, v7, 0
	v_mov_b32_e32 v6, v5
	v_mad_u64_u32 v[6:7], s[6:7], s9, v7, v[6:7]
	v_mov_b32_e32 v5, v6
	v_lshl_add_u64 v[2:3], v[2:3], 3, v[0:1]
	v_lshl_add_u64 v[4:5], v[4:5], 3, v[0:1]
	global_load_dwordx2 v[70:71], v[2:3], off
	global_load_dwordx2 v[10:11], v[4:5], off
	v_add_u32_e32 v5, 0xdc, v120
	v_mad_u64_u32 v[2:3], s[6:7], s8, v5, 0
	v_mov_b32_e32 v4, v3
	v_mad_u64_u32 v[4:5], s[6:7], s9, v5, v[4:5]
	v_add_u32_e32 v7, 0x14a, v120
	v_mov_b32_e32 v3, v4
	v_mad_u64_u32 v[4:5], s[6:7], s8, v7, 0
	v_mov_b32_e32 v6, v5
	v_mad_u64_u32 v[6:7], s[6:7], s9, v7, v[6:7]
	v_mov_b32_e32 v5, v6
	v_add_u32_e32 v7, 0x1b8, v120
	v_lshl_add_u64 v[12:13], v[4:5], 3, v[0:1]
	v_mad_u64_u32 v[4:5], s[6:7], s8, v7, 0
	v_mov_b32_e32 v6, v5
	v_mad_u64_u32 v[6:7], s[6:7], s9, v7, v[6:7]
	v_mov_b32_e32 v5, v6
	v_add_u32_e32 v7, 0x226, v120
	v_lshl_add_u64 v[14:15], v[4:5], 3, v[0:1]
	;; [unrolled: 6-line block ×8, first 2 shown]
	v_mad_u64_u32 v[4:5], s[6:7], s8, v7, 0
	v_mov_b32_e32 v6, v5
	v_mad_u64_u32 v[6:7], s[6:7], s9, v7, v[6:7]
	v_mov_b32_e32 v5, v6
	v_lshl_add_u64 v[28:29], v[4:5], 3, v[0:1]
	global_load_dwordx2 v[8:9], v[18:19], off
	global_load_dwordx2 v[62:63], v[24:25], off
	;; [unrolled: 1-line block ×4, first 2 shown]
	v_add_u32_e32 v25, 0x528, v120
	v_mad_u64_u32 v[18:19], s[6:7], s8, v25, 0
	v_mov_b32_e32 v24, v19
	v_mad_u64_u32 v[24:25], s[6:7], s9, v25, v[24:25]
	v_mov_b32_e32 v19, v24
	v_add_u32_e32 v27, 0x596, v120
	v_lshl_add_u64 v[24:25], v[18:19], 3, v[0:1]
	v_mad_u64_u32 v[18:19], s[6:7], s8, v27, 0
	v_mov_b32_e32 v26, v19
	v_mad_u64_u32 v[26:27], s[6:7], s9, v27, v[26:27]
	v_mov_b32_e32 v19, v26
	v_lshl_add_u64 v[26:27], v[18:19], 3, v[0:1]
	global_load_dwordx2 v[18:19], v[22:23], off
	global_load_dwordx2 v[56:57], v[20:21], off
	;; [unrolled: 1-line block ×4, first 2 shown]
	v_add_u32_e32 v17, 0x604, v120
	v_mad_u64_u32 v[14:15], s[6:7], s8, v17, 0
	v_mov_b32_e32 v16, v15
	v_mad_u64_u32 v[16:17], s[6:7], s9, v17, v[16:17]
	v_mov_b32_e32 v15, v16
	v_add_u32_e32 v17, 0x672, v120
	v_lshl_add_u64 v[28:29], v[14:15], 3, v[0:1]
	v_mad_u64_u32 v[14:15], s[6:7], s8, v17, 0
	v_mov_b32_e32 v16, v15
	v_mad_u64_u32 v[16:17], s[6:7], s9, v17, v[16:17]
	v_mov_b32_e32 v15, v16
	v_lshl_add_u64 v[2:3], v[2:3], 3, v[0:1]
	v_lshl_add_u64 v[30:31], v[14:15], 3, v[0:1]
	global_load_dwordx2 v[64:65], v[12:13], off
	global_load_dwordx2 v[66:67], v[2:3], off
	;; [unrolled: 1-line block ×6, first 2 shown]
	v_add_u32_e32 v13, 0x6e0, v120
	v_mad_u64_u32 v[2:3], s[6:7], s8, v13, 0
	v_mov_b32_e32 v12, v3
	v_mad_u64_u32 v[12:13], s[6:7], s9, v13, v[12:13]
	v_mov_b32_e32 v3, v12
	v_lshl_add_u64 v[2:3], v[2:3], 3, v[0:1]
	global_load_dwordx2 v[12:13], v[2:3], off
	s_waitcnt vmcnt(16)
	v_mov_b32_e32 v25, v71
	s_waitcnt vmcnt(13)
	v_mov_b32_e32 v24, v63
.LBB0_11:
	s_or_b64 exec, exec, s[2:3]
	s_waitcnt vmcnt(0)
	v_pk_add_f32 v[30:31], v[10:11], v[12:13] neg_lo:[0,1] neg_hi:[0,1]
	v_pk_add_f32 v[68:69], v[10:11], v[12:13]
	s_mov_b32 s12, 0xbf59a7d5
	v_mul_f32_e32 v71, 0xbf06c442, v31
	v_pk_add_f32 v[32:33], v[66:67], v[20:21] neg_lo:[0,1] neg_hi:[0,1]
	s_mov_b32 s14, 0xbe8c1d8e
	s_mov_b32 s13, 0xbf1a4643
	v_fma_f32 v2, v68, s12, -v71
	v_pk_add_f32 v[46:47], v[66:67], v[20:21]
	s_mov_b32 s15, 0x3ee437d1
	v_mul_f32_e32 v73, 0x3f65296c, v33
	v_pk_add_f32 v[36:37], v[64:65], v[16:17] neg_lo:[0,1] neg_hi:[0,1]
	s_mov_b32 s16, 0x3f6eb680
	v_add_f32_e32 v2, v70, v2
	v_fma_f32 v3, v46, s15, -v73
	v_pk_add_f32 v[48:49], v[64:65], v[16:17]
	s_mov_b32 s17, 0x3dbcf732
	v_mul_f32_e32 v79, 0xbf7ee86f, v37
	v_pk_add_f32 v[38:39], v[60:61], v[14:15] neg_lo:[0,1] neg_hi:[0,1]
	v_add_f32_e32 v2, v2, v3
	v_fma_f32 v3, v48, s17, -v79
	v_pk_add_f32 v[50:51], v[60:61], v[14:15]
	v_mul_f32_e32 v77, 0x3f4c4adb, v39
	v_pk_add_f32 v[40:41], v[58:59], v[22:23] neg_lo:[0,1] neg_hi:[0,1]
	v_add_f32_e32 v2, v2, v3
	v_fma_f32 v3, v50, s13, -v77
	v_pk_add_f32 v[52:53], v[58:59], v[22:23]
	v_mul_f32_e32 v75, 0xbeb8f4ab, v41
	s_mov_b32 s18, 0x3f3d2fb0
	v_pk_add_f32 v[42:43], v[56:57], v[4:5] neg_lo:[0,1] neg_hi:[0,1]
	v_add_f32_e32 v2, v2, v3
	v_fma_f32 v3, v52, s16, -v75
	s_mov_b32 s19, 0xbf7ba420
	v_pk_add_f32 v[54:55], v[56:57], v[4:5]
	v_mul_f32_e32 v83, 0xbe3c28d5, v43
	v_pk_add_f32 v[34:35], v[18:19], v[6:7] neg_lo:[0,1] neg_hi:[0,1]
	v_mov_b32_e32 v63, v24
	v_add_f32_e32 v2, v2, v3
	v_fma_f32 v3, v54, s19, -v83
	v_pk_add_f32 v[44:45], v[18:19], v[6:7]
	v_mul_f32_e32 v81, 0x3f2c7751, v35
	v_pk_add_f32 v[26:27], v[8:9], v[62:63] neg_lo:[0,1] neg_hi:[0,1]
	v_add_f32_e32 v2, v2, v3
	v_fma_f32 v3, v44, s18, -v81
	v_pk_add_f32 v[28:29], v[8:9], v[62:63]
	v_mul_f32_e32 v85, 0xbf763a35, v27
	v_add_f32_e32 v2, v2, v3
	s_mov_b32 s24, 0xbeb8f4ab
	v_fma_f32 v3, v28, s14, -v85
	s_mov_b32 s3, 0xbf06c442
	s_mov_b32 s7, 0x3f65296c
	;; [unrolled: 1-line block ×7, first 2 shown]
	v_add_f32_e32 v2, v2, v3
	s_and_saveexec_b64 s[28:29], s[0:1]
	s_cbranch_execz .LBB0_13
; %bb.12:
	s_mov_b32 s30, 0xbf2c7751
	v_mov_b32_e32 v88, v33
	v_mov_b32_e32 v89, v46
	s_mov_b32 s34, s30
	s_mov_b32 s35, s18
	v_pk_mul_f32 v[86:87], v[88:89], s[34:35]
	v_mov_b32_e32 v90, v37
	v_mov_b32_e32 v3, v86
	v_pk_fma_f32 v[104:105], v[88:89], s[34:35], v[2:3]
	s_mov_b32 s34, 0x3eb8f4ab
	s_mov_b32 s35, 0xbf65296c
	v_mov_b32_e32 v91, v48
	s_mov_b32 s36, s35
	s_mov_b32 s37, s15
	v_pk_mul_f32 v[88:89], v[90:91], s[36:37]
	v_mov_b32_e32 v92, v39
	v_mov_b32_e32 v3, v88
	v_pk_fma_f32 v[106:107], v[90:91], s[36:37], v[2:3]
	v_mov_b32_e32 v93, v50
	s_mov_b32 s36, s25
	s_mov_b32 s37, s17
	v_pk_mul_f32 v[90:91], v[92:93], s[36:37]
	v_mov_b32_e32 v94, v41
	v_mov_b32_e32 v3, v90
	v_pk_fma_f32 v[108:109], v[92:93], s[36:37], v[2:3]
	v_mov_b32_e32 v95, v52
	s_mov_b32 s36, s23
	s_mov_b32 s37, s14
	v_pk_mul_f32 v[92:93], v[94:95], s[36:37]
	s_mov_b32 s39, s13
	v_mov_b32_e32 v3, v92
	v_pk_fma_f32 v[110:111], v[94:95], s[36:37], v[2:3]
	s_mov_b32 s37, 0xbf4c4adb
	v_mov_b32_e32 v94, v43
	v_mov_b32_e32 v95, v54
	s_mov_b32 s38, s37
	v_pk_mul_f32 v[96:97], v[94:95], s[38:39]
	v_pk_add_f32 v[102:103], v[70:71], v[10:11]
	v_mov_b32_e32 v3, v96
	v_pk_fma_f32 v[112:113], v[94:95], s[38:39], v[2:3]
	v_mov_b32_e32 v94, v35
	v_mov_b32_e32 v95, v44
	s_mov_b32 s38, s3
	s_mov_b32 s39, s12
	v_pk_mul_f32 v[98:99], v[94:95], s[38:39]
	v_pk_add_f32 v[102:103], v[102:103], v[66:67]
	v_mov_b32_e32 v3, v98
	v_pk_fma_f32 v[114:115], v[94:95], s[38:39], v[2:3]
	v_mov_b32_e32 v100, v27
	v_mov_b32_e32 v101, v28
	s_mov_b32 s38, s11
	s_mov_b32 s39, s19
	v_pk_add_f32 v[102:103], v[102:103], v[64:65]
	v_pk_mul_f32 v[94:95], v[100:101], s[38:39]
	v_pk_add_f32 v[102:103], v[102:103], v[60:61]
	v_mov_b32_e32 v3, v94
	s_mov_b32 s31, s35
	v_pk_add_f32 v[102:103], v[102:103], v[58:59]
	v_pk_fma_f32 v[116:117], v[100:101], s[38:39], v[2:3]
	v_pk_mul_f32 v[100:101], v[30:31], s[30:31] op_sel:[1,0]
	v_pk_add_f32 v[102:103], v[102:103], v[56:57]
	v_mul_f32_e32 v101, 0xbeb8f4ab, v31
	v_pk_add_f32 v[118:119], v[102:103], v[18:19]
	v_mul_f32_e32 v103, 0x3f6eb680, v68
	v_mov_b32_e32 v119, v101
	v_mov_b32_e32 v102, v8
	;; [unrolled: 1-line block ×3, first 2 shown]
	v_pk_add_f32 v[118:119], v[118:119], v[102:103]
	v_mov_b32_e32 v104, v6
	v_pk_add_f32 v[118:119], v[118:119], v[62:63]
	v_mov_b32_e32 v106, v4
	;; [unrolled: 2-line block ×7, first 2 shown]
	v_pk_add_f32 v[104:105], v[114:115], v[104:105]
	s_movk_i32 s2, 0x44
	s_mov_b32 s40, s18
	s_mov_b32 s41, s15
	v_pk_add_f32 v[104:105], v[116:117], v[104:105]
	v_mad_u32_u24 v3, v120, s2, 0
	s_mov_b32 s42, s17
	s_mov_b32 s43, s13
	v_pk_mul_f32 v[118:119], v[68:69], s[40:41] op_sel_hi:[0,1]
	ds_write2_b32 v3, v104, v105 offset1:1
	s_mov_b32 s38, s25
	s_mov_b32 s39, s37
	v_pk_fma_f32 v[104:105], v[30:31], s[30:31], v[118:119] op_sel:[1,0,0]
	v_pk_mul_f32 v[110:111], v[46:47], s[42:43] op_sel_hi:[0,1]
	s_mov_b32 s42, s13
	s_mov_b32 s43, s19
	v_pk_add_f32 v[104:105], v[62:63], v[104:105] op_sel:[1,0]
	v_pk_fma_f32 v[106:107], v[32:33], s[38:39], v[110:111] op_sel:[1,0,0]
	s_mov_b32 s41, 0x3e3c28d5
	s_mov_b32 s40, s37
	v_pk_mul_f32 v[108:109], v[48:49], s[42:43] op_sel_hi:[0,1]
	s_mov_b32 s20, 0x3f763a35
	s_mov_b32 s44, s19
	;; [unrolled: 1-line block ×3, first 2 shown]
	v_pk_add_f32 v[104:105], v[104:105], v[106:107]
	v_pk_fma_f32 v[106:107], v[36:37], s[40:41], v[108:109] op_sel:[1,0,0]
	s_mov_b32 s42, s11
	s_mov_b32 s43, s20
	v_pk_mul_f32 v[112:113], v[50:51], s[44:45] op_sel_hi:[0,1]
	s_mov_b32 s51, 0x3f06c442
	s_mov_b32 s46, s12
	s_mov_b32 s47, s18
	v_pk_add_f32 v[104:105], v[104:105], v[106:107]
	v_pk_fma_f32 v[106:107], v[38:39], s[42:43], v[112:113] op_sel:[1,0,0]
	s_mov_b32 s44, s51
	s_mov_b32 s45, s21
	v_pk_mul_f32 v[116:117], v[52:53], s[46:47] op_sel_hi:[0,1]
	s_mov_b32 s48, s14
	s_mov_b32 s49, s16
	v_pk_add_f32 v[104:105], v[104:105], v[106:107]
	v_pk_fma_f32 v[106:107], v[40:41], s[44:45], v[116:117] op_sel:[1,0,0]
	s_mov_b32 s46, s20
	s_mov_b32 s47, s24
	v_pk_mul_f32 v[114:115], v[54:55], s[48:49] op_sel_hi:[0,1]
	v_pk_add_f32 v[104:105], v[104:105], v[106:107]
	v_pk_fma_f32 v[106:107], v[42:43], s[46:47], v[114:115] op_sel:[1,0,0]
	s_mov_b32 s52, s15
	s_mov_b32 s53, s17
	v_pk_add_f32 v[104:105], v[104:105], v[106:107]
	s_mov_b32 s48, s7
	s_mov_b32 s49, s25
	v_pk_mul_f32 v[106:107], v[44:45], s[52:53] op_sel_hi:[0,1]
	v_pk_fma_f32 v[122:123], v[34:35], s[48:49], v[106:107] op_sel:[1,0,0]
	s_mov_b32 s52, s16
	s_mov_b32 s53, s12
	v_pk_add_f32 v[122:123], v[104:105], v[122:123]
	s_mov_b32 s2, s34
	v_pk_mul_f32 v[104:105], v[28:29], s[52:53] op_sel_hi:[0,1]
	v_pk_fma_f32 v[124:125], v[26:27], s[2:3], v[104:105] op_sel:[1,0,0]
	s_mov_b32 s52, s17
	v_pk_add_f32 v[122:123], v[122:123], v[124:125]
	s_mov_b32 s53, s14
	ds_write2_b32 v3, v122, v123 offset0:2 offset1:3
	s_mov_b32 s22, s25
	s_mov_b32 s54, s19
	;; [unrolled: 1-line block ×3, first 2 shown]
	v_pk_mul_f32 v[122:123], v[68:69], s[52:53] op_sel_hi:[0,1]
	s_mov_b32 s50, s11
	v_pk_fma_f32 v[124:125], v[30:31], s[22:23], v[122:123] op_sel:[1,0,0]
	v_pk_mul_f32 v[126:127], v[46:47], s[54:55] op_sel_hi:[0,1]
	v_pk_add_f32 v[124:125], v[62:63], v[124:125] op_sel:[1,0]
	v_pk_fma_f32 v[128:129], v[32:33], s[50:51], v[126:127] op_sel:[1,0,0]
	s_mov_b32 s52, s14
	s_mov_b32 s53, s18
	v_pk_add_f32 v[124:125], v[124:125], v[128:129]
	v_pk_mul_f32 v[128:129], v[48:49], s[52:53] op_sel_hi:[0,1]
	v_pk_fma_f32 v[130:131], v[36:37], s[20:21], v[128:129] op_sel:[1,0,0]
	s_mov_b32 s52, s16
	s_mov_b32 s53, s15
	v_pk_add_f32 v[124:125], v[124:125], v[130:131]
	v_pk_mul_f32 v[130:131], v[50:51], s[52:53] op_sel_hi:[0,1]
	v_pk_fma_f32 v[132:133], v[38:39], s[34:35], v[130:131] op_sel:[1,0,0]
	s_mov_b32 s52, s15
	s_mov_b32 s53, s19
	v_pk_add_f32 v[124:125], v[124:125], v[132:133]
	s_mov_b32 s10, s35
	v_pk_mul_f32 v[132:133], v[52:53], s[52:53] op_sel_hi:[0,1]
	v_pk_fma_f32 v[134:135], v[40:41], s[10:11], v[132:133] op_sel:[1,0,0]
	s_mov_b32 s54, s12
	s_mov_b32 s55, s17
	v_pk_add_f32 v[124:125], v[124:125], v[134:135]
	s_mov_b32 s53, 0x3f7ee86f
	s_mov_b32 s52, s3
	v_pk_mul_f32 v[134:135], v[54:55], s[54:55] op_sel_hi:[0,1]
	v_pk_fma_f32 v[136:137], v[42:43], s[52:53], v[134:135] op_sel:[1,0,0]
	s_mov_b32 s56, s13
	s_mov_b32 s57, s16
	v_pk_add_f32 v[124:125], v[124:125], v[136:137]
	s_mov_b32 s54, s27
	;; [unrolled: 7-line block ×3, first 2 shown]
	v_pk_mul_f32 v[138:139], v[28:29], s[56:57] op_sel_hi:[0,1]
	v_pk_fma_f32 v[140:141], v[26:27], s[36:37], v[138:139] op_sel:[1,0,0]
	v_mul_f32_e32 v70, 0xbf4c4adb, v31
	v_pk_add_f32 v[124:125], v[124:125], v[140:141]
	ds_write2_b32 v3, v124, v125 offset0:4 offset1:5
	v_mul_f32_e32 v125, 0xbf59a7d5, v68
	v_mul_f32_e32 v124, 0xbf1a4643, v68
	v_pk_add_f32 v[142:143], v[70:71], v[124:125]
	v_mov_b32_e32 v125, v123
	v_pk_mul_f32 v[122:123], v[30:31], s[22:23] op_sel:[1,0]
	v_mul_f32_e32 v141, 0x3ee437d1, v46
	v_mul_f32_e32 v140, 0xbe8c1d8e, v46
	;; [unrolled: 1-line block ×3, first 2 shown]
	v_mov_b32_e32 v71, v123
	v_pk_mul_f32 v[122:123], v[32:33], s[50:51] op_sel:[1,0]
	v_pk_add_f32 v[144:145], v[72:73], v[140:141]
	v_pk_add_f32 v[70:71], v[124:125], v[70:71] neg_lo:[0,1] neg_hi:[0,1]
	v_mov_b32_e32 v141, v127
	v_mov_b32_e32 v73, v123
	v_pk_add_f32 v[142:143], v[62:63], v[142:143] op_sel:[1,0]
	v_pk_add_f32 v[72:73], v[140:141], v[72:73] neg_lo:[0,1] neg_hi:[0,1]
	v_pk_add_f32 v[70:71], v[62:63], v[70:71] op_sel:[1,0]
	v_pk_add_f32 v[142:143], v[142:143], v[144:145]
	v_mul_f32_e32 v145, 0x3dbcf732, v48
	v_mul_f32_e32 v144, 0x3f6eb680, v48
	v_mul_f32_e32 v78, 0xbeb8f4ab, v37
	v_pk_add_f32 v[70:71], v[70:71], v[72:73]
	v_pk_mul_f32 v[72:73], v[36:37], s[20:21] op_sel:[1,0]
	v_pk_add_f32 v[146:147], v[78:79], v[144:145]
	v_mov_b32_e32 v145, v129
	v_mov_b32_e32 v79, v73
	v_pk_add_f32 v[72:73], v[144:145], v[78:79] neg_lo:[0,1] neg_hi:[0,1]
	v_pk_add_f32 v[142:143], v[142:143], v[146:147]
	v_mul_f32_e32 v147, 0xbf1a4643, v50
	v_mul_f32_e32 v146, 0xbf59a7d5, v50
	v_mul_f32_e32 v76, 0xbf06c442, v39
	v_pk_add_f32 v[70:71], v[70:71], v[72:73]
	v_pk_mul_f32 v[72:73], v[38:39], s[34:35] op_sel:[1,0]
	v_pk_add_f32 v[148:149], v[76:77], v[146:147]
	v_mov_b32_e32 v147, v131
	v_mov_b32_e32 v77, v73
	v_pk_add_f32 v[72:73], v[146:147], v[76:77] neg_lo:[0,1] neg_hi:[0,1]
	;; [unrolled: 10-line block ×6, first 2 shown]
	s_mov_b32 s6, s53
	v_pk_add_f32 v[70:71], v[70:71], v[72:73]
	ds_write2_b32 v3, v70, v71 offset0:11 offset1:12
	s_mov_b32 s54, s17
	s_mov_b32 s55, s15
	v_pk_mul_f32 v[70:71], v[30:31], s[6:7] op_sel:[1,0]
	s_mov_b32 s26, s41
	v_mul_f32_e32 v4, 0xbf7ba420, v68
	v_pk_fma_f32 v[68:69], v[68:69], s[54:55], v[70:71] op_sel_hi:[0,1,1]
	s_mov_b32 s54, s19
	s_mov_b32 s55, s13
	v_pk_mul_f32 v[70:71], v[32:33], s[26:27] op_sel:[1,0]
	v_pk_add_f32 v[68:69], v[62:63], v[68:69] op_sel:[1,0]
	v_pk_fma_f32 v[70:71], v[46:47], s[54:55], v[70:71] op_sel_hi:[0,1,1]
	s_mov_b32 s10, s23
	v_pk_add_f32 v[68:69], v[68:69], v[70:71]
	s_mov_b32 s54, s14
	s_mov_b32 s55, s19
	v_pk_mul_f32 v[70:71], v[36:37], s[10:11] op_sel:[1,0]
	s_mov_b32 s22, s24
	v_pk_fma_f32 v[70:71], v[48:49], s[54:55], v[70:71] op_sel_hi:[0,1,1]
	v_pk_add_f32 v[68:69], v[68:69], v[70:71]
	s_mov_b32 s54, s16
	s_mov_b32 s55, s14
	v_pk_mul_f32 v[70:71], v[38:39], s[22:23] op_sel:[1,0]
	s_mov_b32 s56, s7
	v_pk_fma_f32 v[70:71], v[50:51], s[54:55], v[70:71] op_sel_hi:[0,1,1]
	s_mov_b32 s57, s30
	v_pk_add_f32 v[68:69], v[68:69], v[70:71]
	s_mov_b32 s54, s15
	s_mov_b32 s55, s18
	v_pk_mul_f32 v[70:71], v[40:41], s[56:57] op_sel:[1,0]
	s_mov_b32 s56, s51
	v_pk_fma_f32 v[70:71], v[52:53], s[54:55], v[70:71] op_sel_hi:[0,1,1]
	s_mov_b32 s57, s34
	v_pk_add_f32 v[68:69], v[68:69], v[70:71]
	s_mov_b32 s54, s12
	s_mov_b32 s55, s16
	v_pk_mul_f32 v[70:71], v[42:43], s[56:57] op_sel:[1,0]
	s_mov_b32 s52, s37
	v_pk_fma_f32 v[70:71], v[54:55], s[54:55], v[70:71] op_sel_hi:[0,1,1]
	v_pk_add_f32 v[68:69], v[68:69], v[70:71]
	s_mov_b32 s34, s13
	s_mov_b32 s35, s17
	v_pk_mul_f32 v[70:71], v[34:35], s[52:53] op_sel:[1,0]
	s_mov_b32 s31, s51
	v_pk_fma_f32 v[70:71], v[44:45], s[34:35], v[70:71] op_sel_hi:[0,1,1]
	v_pk_add_f32 v[68:69], v[68:69], v[70:71]
	s_mov_b32 s34, s18
	s_mov_b32 s35, s12
	v_pk_mul_f32 v[70:71], v[26:27], s[30:31] op_sel:[1,0]
	v_pk_add_f32 v[142:143], v[142:143], v[156:157]
	v_mul_f32_e32 v6, 0xbe3c28d5, v31
	v_pk_fma_f32 v[70:71], v[28:29], s[34:35], v[70:71] op_sel_hi:[0,1,1]
	ds_write2_b32 v3, v142, v143 offset0:6 offset1:7
	v_pk_add_f32 v[142:143], v[4:5], v[6:7]
	v_pk_add_f32 v[156:157], v[4:5], v[6:7] neg_lo:[0,1] neg_hi:[0,1]
	v_pk_add_f32 v[68:69], v[68:69], v[70:71]
	v_mov_b32_e32 v119, v103
	v_mov_b32_e32 v143, v156
	ds_write2_b32 v3, v68, v69 offset0:13 offset1:14
	v_pk_add_f32 v[68:69], v[118:119], v[100:101] neg_lo:[0,1] neg_hi:[0,1]
	v_pk_add_f32 v[142:143], v[62:63], v[142:143] op_sel:[1,0]
	v_pk_add_f32 v[62:63], v[62:63], v[68:69] op_sel:[1,0]
	v_pk_mul_f32 v[68:69], v[32:33], s[38:39] op_sel:[1,0]
	v_mov_b32_e32 v111, v87
	v_mov_b32_e32 v69, v86
	v_pk_add_f32 v[68:69], v[110:111], v[68:69] neg_lo:[0,1] neg_hi:[0,1]
	v_mul_f32_e32 v4, 0x3f6eb680, v46
	v_pk_add_f32 v[62:63], v[62:63], v[68:69]
	v_pk_mul_f32 v[68:69], v[36:37], s[40:41] op_sel:[1,0]
	v_mul_f32_e32 v6, 0x3eb8f4ab, v33
	v_mov_b32_e32 v109, v89
	v_mov_b32_e32 v69, v88
	v_pk_add_f32 v[156:157], v[4:5], v[6:7]
	v_pk_add_f32 v[158:159], v[4:5], v[6:7] neg_lo:[0,1] neg_hi:[0,1]
	v_pk_add_f32 v[68:69], v[108:109], v[68:69] neg_lo:[0,1] neg_hi:[0,1]
	v_mov_b32_e32 v157, v158
	v_mul_f32_e32 v4, 0xbf59a7d5, v48
	v_mul_f32_e32 v6, 0xbf06c442, v37
	v_pk_add_f32 v[62:63], v[62:63], v[68:69]
	v_pk_mul_f32 v[68:69], v[38:39], s[42:43] op_sel:[1,0]
	v_pk_add_f32 v[142:143], v[142:143], v[156:157]
	v_pk_add_f32 v[156:157], v[4:5], v[6:7]
	v_pk_add_f32 v[158:159], v[4:5], v[6:7] neg_lo:[0,1] neg_hi:[0,1]
	v_mov_b32_e32 v113, v91
	v_mov_b32_e32 v69, v90
	;; [unrolled: 1-line block ×3, first 2 shown]
	v_mul_f32_e32 v4, 0x3f3d2fb0, v50
	v_mul_f32_e32 v6, 0x3f2c7751, v39
	v_pk_add_f32 v[68:69], v[112:113], v[68:69] neg_lo:[0,1] neg_hi:[0,1]
	v_pk_add_f32 v[142:143], v[142:143], v[156:157]
	v_pk_add_f32 v[156:157], v[4:5], v[6:7]
	v_pk_add_f32 v[158:159], v[4:5], v[6:7] neg_lo:[0,1] neg_hi:[0,1]
	v_pk_add_f32 v[62:63], v[62:63], v[68:69]
	v_pk_mul_f32 v[68:69], v[40:41], s[44:45] op_sel:[1,0]
	v_mov_b32_e32 v157, v158
	v_mul_f32_e32 v4, 0xbf1a4643, v52
	v_mul_f32_e32 v6, 0xbf4c4adb, v41
	v_mov_b32_e32 v117, v93
	v_mov_b32_e32 v69, v92
	v_pk_add_f32 v[142:143], v[142:143], v[156:157]
	v_pk_add_f32 v[156:157], v[4:5], v[6:7]
	v_pk_add_f32 v[158:159], v[4:5], v[6:7] neg_lo:[0,1] neg_hi:[0,1]
	v_pk_add_f32 v[68:69], v[116:117], v[68:69] neg_lo:[0,1] neg_hi:[0,1]
	v_mov_b32_e32 v157, v158
	v_mul_f32_e32 v4, 0x3ee437d1, v54
	v_mul_f32_e32 v6, 0x3f65296c, v43
	v_pk_add_f32 v[62:63], v[62:63], v[68:69]
	v_pk_mul_f32 v[68:69], v[42:43], s[46:47] op_sel:[1,0]
	v_pk_add_f32 v[142:143], v[142:143], v[156:157]
	v_pk_add_f32 v[156:157], v[4:5], v[6:7]
	v_pk_add_f32 v[158:159], v[4:5], v[6:7] neg_lo:[0,1] neg_hi:[0,1]
	v_mov_b32_e32 v115, v97
	v_mov_b32_e32 v69, v96
	;; [unrolled: 1-line block ×3, first 2 shown]
	v_mul_f32_e32 v4, 0xbe8c1d8e, v44
	v_mul_f32_e32 v6, 0xbf763a35, v35
	v_pk_add_f32 v[68:69], v[114:115], v[68:69] neg_lo:[0,1] neg_hi:[0,1]
	v_pk_add_f32 v[142:143], v[142:143], v[156:157]
	v_pk_add_f32 v[156:157], v[4:5], v[6:7]
	v_pk_add_f32 v[158:159], v[4:5], v[6:7] neg_lo:[0,1] neg_hi:[0,1]
	v_pk_add_f32 v[62:63], v[62:63], v[68:69]
	v_pk_mul_f32 v[68:69], v[34:35], s[48:49] op_sel:[1,0]
	v_mov_b32_e32 v157, v158
	v_mul_f32_e32 v4, 0x3dbcf732, v28
	v_mul_f32_e32 v6, 0x3f7ee86f, v27
	v_mov_b32_e32 v107, v99
	v_mov_b32_e32 v69, v98
	v_pk_mul_f32 v[70:71], v[26:27], s[2:3] op_sel:[1,0]
	v_pk_add_f32 v[142:143], v[142:143], v[156:157]
	v_pk_add_f32 v[156:157], v[4:5], v[6:7]
	v_pk_add_f32 v[158:159], v[4:5], v[6:7] neg_lo:[0,1] neg_hi:[0,1]
	v_pk_add_f32 v[68:69], v[106:107], v[68:69] neg_lo:[0,1] neg_hi:[0,1]
	v_mov_b32_e32 v105, v95
	v_mov_b32_e32 v71, v94
	;; [unrolled: 1-line block ×3, first 2 shown]
	v_pk_add_f32 v[62:63], v[62:63], v[68:69]
	v_pk_add_f32 v[68:69], v[104:105], v[70:71] neg_lo:[0,1] neg_hi:[0,1]
	v_pk_add_f32 v[142:143], v[142:143], v[156:157]
	v_pk_add_f32 v[62:63], v[62:63], v[68:69]
	ds_write2_b32 v3, v142, v143 offset0:8 offset1:9
	ds_write_b32 v3, v2 offset:40
	ds_write2_b32 v3, v62, v63 offset0:15 offset1:16
.LBB0_13:
	s_or_b64 exec, exec, s[28:29]
	v_pk_add_f32 v[62:63], v[24:25], v[10:11]
	v_mov_b32_e32 v12, v57
	v_pk_add_f32 v[62:63], v[62:63], v[66:67]
	s_mov_b32 s2, 0xbf4c4adb
	v_pk_add_f32 v[62:63], v[62:63], v[64:65]
	v_pk_mul_f32 v[66:67], v[30:31], s[2:3] op_sel_hi:[0,1]
	v_pk_add_f32 v[60:61], v[62:63], v[60:61]
	s_mov_b32 s6, 0x3f763a35
	v_pk_add_f32 v[58:59], v[60:61], v[58:59]
	s_mov_b32 s34, s13
	v_mov_b32_e32 v10, v59
	v_pk_add_f32 v[112:113], v[10:11], v[12:13]
	s_mov_b32 s35, s12
	v_pk_mul_f32 v[68:69], v[32:33], s[6:7] op_sel_hi:[0,1]
	v_pk_fma_f32 v[64:65], v[112:113], s[34:35], v[66:67] op_sel:[1,0,0]
	v_pk_mul_f32 v[70:71], v[36:37], s[24:25] op_sel_hi:[0,1]
	s_mov_b32 s26, s3
	v_pk_fma_f32 v[10:11], v[46:47], s[14:15], v[68:69] op_sel:[1,0,0]
	v_pk_add_f32 v[64:65], v[24:25], v[64:65] op_sel:[1,0]
	v_pk_mul_f32 v[72:73], v[38:39], s[26:27] op_sel_hi:[0,1]
	s_mov_b32 s26, 0x3f7ee86f
	s_mov_b32 s27, s24
	v_pk_fma_f32 v[56:57], v[48:49], s[16:17], v[70:71] op_sel:[1,0,0]
	v_pk_add_f32 v[10:11], v[64:65], v[10:11]
	s_mov_b32 s30, s17
	s_mov_b32 s31, s16
	v_pk_mul_f32 v[74:75], v[40:41], s[26:27] op_sel_hi:[0,1]
	s_mov_b32 s10, 0xbf2c7751
	v_pk_fma_f32 v[58:59], v[50:51], s[12:13], v[72:73] op_sel:[1,0,0]
	v_pk_add_f32 v[10:11], v[10:11], v[56:57]
	v_pk_mul_f32 v[78:79], v[42:43], s[10:11] op_sel_hi:[0,1]
	s_mov_b32 s20, s11
	v_pk_fma_f32 v[60:61], v[52:53], s[30:31], v[74:75] op_sel:[1,0,0]
	v_pk_add_f32 v[10:11], v[10:11], v[58:59]
	s_mov_b32 s24, s19
	s_mov_b32 s25, s18
	v_pk_mul_f32 v[76:77], v[34:35], s[20:21] op_sel_hi:[0,1]
	v_pk_fma_f32 v[62:63], v[54:55], s[18:19], v[78:79] op_sel:[1,0,0]
	v_pk_add_f32 v[10:11], v[10:11], v[60:61]
	v_lshl_add_u32 v3, v120, 2, 0
	v_pk_add_f32 v[10:11], v[10:11], v[62:63]
	v_pk_fma_f32 v[56:57], v[44:45], s[24:25], v[76:77] op_sel:[1,0,0]
	v_add_u32_e32 v8, 0x500, v3
	v_add_u32_e32 v12, 0xb00, v3
	;; [unrolled: 1-line block ×4, first 2 shown]
	v_pk_add_f32 v[10:11], v[10:11], v[56:57]
	s_waitcnt lgkmcnt(0)
	s_barrier
	ds_read2_b32 v[56:57], v3 offset1:187
	ds_read2_b32 v[60:61], v8 offset0:54 offset1:241
	ds_read2_b32 v[58:59], v12 offset0:44 offset1:231
	;; [unrolled: 1-line block ×4, first 2 shown]
	s_mov_b32 s22, s7
	s_mov_b32 s28, s15
	s_mov_b32 s29, s14
	v_pk_mul_f32 v[80:81], v[26:27], s[22:23] op_sel_hi:[0,1]
	v_pk_fma_f32 v[82:83], v[28:29], s[28:29], v[80:81] op_sel:[1,0,0]
	s_waitcnt lgkmcnt(0)
	v_pk_add_f32 v[10:11], v[10:11], v[82:83]
	s_barrier
	s_and_saveexec_b64 s[20:21], s[0:1]
	s_cbranch_execz .LBB0_15
; %bb.14:
	v_mov_b32_e32 v114, v47
	v_mov_b32_e32 v115, v32
	s_mov_b32 s0, 0x3f3d2fb0
	s_mov_b32 s1, s10
	v_pk_mul_f32 v[108:109], v[54:55], s[18:19] op_sel:[1,0]
	v_pk_mul_f32 v[116:117], v[114:115], s[0:1]
	s_mov_b32 s18, 0x3ee437d1
	v_mov_b32_e32 v119, v116
	v_add_f32_e32 v136, v116, v117
	v_mov_b32_e32 v116, v49
	v_mov_b32_e32 v117, v36
	s_mov_b32 s19, 0xbf65296c
	v_mov_b32_e32 v18, v19
	v_mov_b32_e32 v19, 0x3f6eb680
	v_pk_fma_f32 v[114:115], v[114:115], s[0:1], v[118:119] neg_lo:[1,0,0] neg_hi:[1,0,0]
	v_pk_mul_f32 v[118:119], v[116:117], s[18:19]
	v_mul_f32_e32 v133, 0xbeb8f4ab, v30
	v_mov_b32_e32 v132, v9
	v_pk_add_f32 v[134:135], v[112:113], v[18:19]
	v_pk_mul_f32 v[104:105], v[50:51], s[12:13] op_sel:[1,0]
	v_mov_b32_e32 v121, v118
	v_add_f32_e32 v137, v118, v119
	v_mov_b32_e32 v118, v51
	v_mov_b32_e32 v119, v38
	s_mov_b32 s13, 0xbf7ee86f
	s_mov_b32 s12, 0x3dbcf732
	v_pk_add_f32 v[134:135], v[134:135], v[132:133]
	v_pk_fma_f32 v[132:133], v[112:113], v[18:19], v[132:133] neg_lo:[0,0,1] neg_hi:[0,0,1]
	v_pk_mul_f32 v[18:19], v[112:113], v[18:19]
	v_pk_mul_f32 v[122:123], v[118:119], s[12:13]
	v_fmac_f32_e32 v19, 0xbeb8f4ab, v30
	v_pk_mul_f32 v[102:103], v[48:49], s[16:17] op_sel:[1,0]
	v_pk_fma_f32 v[116:117], v[116:117], s[18:19], v[120:121] neg_lo:[1,0,0] neg_hi:[1,0,0]
	v_mov_b32_e32 v121, v122
	v_add_f32_e32 v138, v122, v123
	v_mov_b32_e32 v122, v53
	v_mov_b32_e32 v123, v40
	s_mov_b32 s17, 0xbf763a35
	s_mov_b32 s16, 0xbe8c1d8e
	v_mov_b32_e32 v135, v133
	v_add_f32_e32 v9, v25, v19
	v_pk_mul_f32 v[124:125], v[122:123], s[16:17]
	v_mov_b32_e32 v114, v7
	v_pk_add_f32 v[134:135], v[134:135], v[24:25]
	v_add_f32_e32 v9, v9, v136
	v_pk_mul_f32 v[100:101], v[46:47], s[14:15] op_sel:[1,0]
	s_mov_b32 s22, 0xbf59a7d5
	v_pk_fma_f32 v[118:119], v[118:119], s[12:13], v[120:121] neg_lo:[1,0,0] neg_hi:[1,0,0]
	v_mov_b32_e32 v121, v124
	v_add_f32_e32 v139, v124, v125
	s_mov_b32 s14, 0xbf1a4643
	v_mov_b32_e32 v124, v55
	v_mov_b32_e32 v125, v42
	s_mov_b32 s15, s2
	v_pk_add_f32 v[114:115], v[114:115], v[134:135]
	v_mov_b32_e32 v116, v5
	v_add_f32_e32 v9, v9, v137
	v_mov_b32_e32 v84, v47
	v_mov_b32_e32 v85, v47
	s_mov_b32 s23, 0xbf06c442
	v_pk_fma_f32 v[122:123], v[122:123], s[16:17], v[120:121] neg_lo:[1,0,0] neg_hi:[1,0,0]
	v_pk_mul_f32 v[126:127], v[124:125], s[14:15]
	v_mov_b32_e32 v128, v45
	v_mov_b32_e32 v129, v34
	v_mul_f32_e32 v20, 0x3f6eb680, v47
	v_pk_add_f32 v[46:47], v[116:117], v[114:115]
	v_mov_b32_e32 v118, v23
	v_add_f32_e32 v9, v9, v138
	v_pk_mul_f32 v[106:107], v[52:53], s[30:31] op_sel:[1,0]
	v_mov_b32_e32 v121, v126
	v_pk_mul_f32 v[130:131], v[128:129], s[22:23]
	s_mov_b32 s31, 0xbe3c28d5
	v_pk_add_f32 v[46:47], v[118:119], v[46:47]
	v_add_f32_e32 v5, v126, v127
	v_mov_b32_e32 v122, v15
	s_mov_b32 s30, 0xbf7ba420
	v_add_f32_e32 v9, v9, v139
	v_mov_b32_e32 v118, v29
	v_mov_b32_e32 v119, v26
	v_pk_fma_f32 v[124:125], v[124:125], s[14:15], v[120:121] neg_lo:[1,0,0] neg_hi:[1,0,0]
	v_mov_b32_e32 v121, v130
	v_pk_add_f32 v[46:47], v[122:123], v[46:47]
	v_add_f32_e32 v5, v9, v5
	v_add_f32_e32 v9, v130, v131
	v_pk_mul_f32 v[122:123], v[118:119], s[30:31]
	v_pk_fma_f32 v[128:129], v[128:129], s[22:23], v[120:121] neg_lo:[1,0,0] neg_hi:[1,0,0]
	v_mul_f32_e32 v4, 0xbe3c28d5, v30
	v_mov_b32_e32 v124, v17
	v_add_f32_e32 v9, v5, v9
	v_mov_b32_e32 v5, v122
	v_pk_add_f32 v[46:47], v[124:125], v[46:47]
	v_mov_b32_e32 v128, v21
	v_pk_fma_f32 v[118:119], v[118:119], s[30:31], v[4:5] neg_lo:[1,0,0] neg_hi:[1,0,0]
	v_mov_b32_e32 v31, v30
	v_pk_add_f32 v[46:47], v[128:129], v[46:47]
	v_mov_b32_e32 v118, v13
	s_mov_b32 s11, s19
	v_mov_b32_e32 v33, v32
	v_mov_b32_e32 v98, v113
	;; [unrolled: 1-line block ×3, first 2 shown]
	v_pk_add_f32 v[46:47], v[118:119], v[46:47]
	v_pk_mul_f32 v[118:119], v[30:31], s[10:11]
	s_mov_b32 s38, s13
	s_mov_b32 s39, s2
	s_mov_b32 s1, s18
	v_mov_b32_e32 v37, v36
	v_mov_b32_e32 v82, v25
	;; [unrolled: 1-line block ×3, first 2 shown]
	v_add_f32_e32 v5, v122, v123
	s_mov_b32 s10, s12
	s_mov_b32 s11, s14
	v_pk_mul_f32 v[122:123], v[32:33], s[38:39]
	s_mov_b32 s3, 0x3e3c28d5
	v_pk_fma_f32 v[140:141], v[98:99], s[0:1], v[118:119] neg_lo:[0,0,1] neg_hi:[0,0,1]
	v_mov_b32_e32 v86, v49
	v_mov_b32_e32 v87, v49
	;; [unrolled: 1-line block ×3, first 2 shown]
	v_pk_fma_f32 v[124:125], v[84:85], s[10:11], v[122:123] neg_lo:[0,0,1] neg_hi:[0,0,1]
	s_mov_b32 s15, s30
	v_pk_mul_f32 v[126:127], v[36:37], s[2:3]
	s_mov_b32 s40, s31
	s_mov_b32 s41, s6
	v_pk_add_f32 v[140:141], v[82:83], v[140:141]
	v_mov_b32_e32 v88, v51
	v_mov_b32_e32 v89, v51
	;; [unrolled: 1-line block ×3, first 2 shown]
	v_pk_mul_f32 v[6:7], v[28:29], s[28:29] op_sel:[1,0]
	s_mov_b32 s29, 0x3f2c7751
	v_pk_fma_f32 v[128:129], v[86:87], s[14:15], v[126:127] neg_lo:[0,0,1] neg_hi:[0,0,1]
	s_mov_b32 s38, s30
	s_mov_b32 s39, s16
	v_pk_mul_f32 v[130:131], v[38:39], s[40:41]
	s_mov_b32 s28, 0x3f06c442
	v_pk_add_f32 v[124:125], v[140:141], v[124:125]
	v_mov_b32_e32 v90, v53
	v_mov_b32_e32 v91, v53
	;; [unrolled: 1-line block ×3, first 2 shown]
	s_mov_b32 s7, 0xbeb8f4ab
	v_pk_fma_f32 v[134:135], v[88:89], s[38:39], v[130:131] neg_lo:[0,0,1] neg_hi:[0,0,1]
	s_mov_b32 s40, s22
	s_mov_b32 s41, s0
	v_pk_mul_f32 v[136:137], v[40:41], s[28:29]
	v_pk_add_f32 v[124:125], v[124:125], v[128:129]
	v_mov_b32_e32 v94, v55
	v_mov_b32_e32 v95, v55
	v_pk_mul_f32 v[132:133], v[44:45], s[24:25] op_sel:[1,0]
	s_mov_b32 s25, 0x3f6eb680
	v_pk_fma_f32 v[138:139], v[90:91], s[40:41], v[136:137] neg_lo:[0,0,1] neg_hi:[0,0,1]
	s_mov_b32 s24, s16
	v_pk_mul_f32 v[140:141], v[42:43], s[6:7]
	v_pk_add_f32 v[124:125], v[124:125], v[134:135]
	v_mov_b32_e32 v35, v34
	s_mov_b32 s36, 0x3f65296c
	v_pk_fma_f32 v[128:129], v[94:95], s[24:25], v[140:141] neg_lo:[0,0,1] neg_hi:[0,0,1]
	v_pk_add_f32 v[124:125], v[124:125], v[138:139]
	s_mov_b32 s37, s13
	v_pk_fma_f32 v[118:119], v[98:99], s[0:1], v[118:119]
	v_mov_b32_e32 v92, v45
	v_mov_b32_e32 v93, v45
	v_pk_add_f32 v[124:125], v[124:125], v[128:129]
	s_mov_b32 s42, s18
	s_mov_b32 s43, s12
	v_pk_mul_f32 v[128:129], v[34:35], s[36:37]
	v_pk_fma_f32 v[122:123], v[84:85], s[10:11], v[122:123]
	v_pk_add_f32 v[118:119], v[82:83], v[118:119]
	v_mov_b32_e32 v27, v26
	v_pk_mul_f32 v[110:111], v[112:113], s[34:35] op_sel:[1,0]
	s_mov_b32 s34, 0x3eb8f4ab
	v_pk_fma_f32 v[134:135], v[92:93], s[42:43], v[128:129] neg_lo:[0,0,1] neg_hi:[0,0,1]
	s_mov_b32 s35, s23
	v_pk_fma_f32 v[126:127], v[86:87], s[14:15], v[126:127]
	v_pk_add_f32 v[118:119], v[118:119], v[122:123]
	v_mov_b32_e32 v96, v29
	v_mov_b32_e32 v97, v29
	v_pk_add_f32 v[124:125], v[124:125], v[134:135]
	s_mov_b32 s36, s25
	s_mov_b32 s37, s22
	v_pk_mul_f32 v[134:135], v[26:27], s[34:35]
	v_pk_fma_f32 v[130:131], v[88:89], s[38:39], v[130:131]
	v_pk_add_f32 v[118:119], v[118:119], v[126:127]
	v_pk_fma_f32 v[138:139], v[96:97], s[36:37], v[134:135] neg_lo:[0,0,1] neg_hi:[0,0,1]
	v_pk_fma_f32 v[136:137], v[90:91], s[40:41], v[136:137]
	v_pk_add_f32 v[118:119], v[118:119], v[130:131]
	v_pk_add_f32 v[124:125], v[124:125], v[138:139]
	v_pk_fma_f32 v[138:139], v[94:95], s[24:25], v[140:141]
	v_pk_add_f32 v[118:119], v[118:119], v[136:137]
	v_pk_fma_f32 v[122:123], v[92:93], s[42:43], v[128:129]
	v_pk_add_f32 v[118:119], v[118:119], v[138:139]
	s_mov_b32 s10, s13
	s_mov_b32 s11, s17
	v_pk_add_f32 v[118:119], v[118:119], v[122:123]
	v_pk_fma_f32 v[122:123], v[96:97], s[36:37], v[134:135]
	v_pk_mul_f32 v[30:31], v[30:31], s[10:11]
	s_mov_b32 s36, s31
	s_mov_b32 s37, s28
	;; [unrolled: 1-line block ×3, first 2 shown]
	v_mul_f32_e32 v22, 0x3eb8f4ab, v32
	s_mov_b32 s10, s30
	s_mov_b32 s11, s22
	v_pk_mul_f32 v[32:33], v[32:33], s[36:37]
	s_mov_b32 s28, s6
	v_pk_fma_f32 v[136:137], v[98:99], s[12:13], v[30:31] neg_lo:[0,0,1] neg_hi:[0,0,1]
	v_mul_f32_e32 v28, 0xbf06c442, v36
	v_pk_add_f32 v[118:119], v[118:119], v[122:123]
	v_pk_fma_f32 v[122:123], v[84:85], s[10:11], v[32:33] neg_lo:[0,0,1] neg_hi:[0,0,1]
	s_mov_b32 s17, s0
	v_pk_mul_f32 v[36:37], v[36:37], s[28:29]
	s_mov_b32 s35, s19
	v_pk_add_f32 v[136:137], v[82:83], v[136:137]
	v_pk_fma_f32 v[30:31], v[98:99], s[12:13], v[30:31]
	v_mul_f32_e32 v48, 0x3f2c7751, v38
	v_pk_fma_f32 v[126:127], v[86:87], s[16:17], v[36:37] neg_lo:[0,0,1] neg_hi:[0,0,1]
	s_mov_b32 s36, s25
	s_mov_b32 s37, s18
	v_pk_mul_f32 v[38:39], v[38:39], s[34:35]
	s_mov_b32 s35, s30
	s_mov_b32 s30, s19
	v_pk_add_f32 v[122:123], v[136:137], v[122:123]
	v_pk_fma_f32 v[32:33], v[84:85], s[10:11], v[32:33]
	v_pk_add_f32 v[30:31], v[82:83], v[30:31]
	v_mul_f32_e32 v52, 0xbf4c4adb, v40
	v_pk_fma_f32 v[128:129], v[88:89], s[36:37], v[38:39] neg_lo:[0,0,1] neg_hi:[0,0,1]
	s_mov_b32 s34, s18
	v_pk_mul_f32 v[40:41], v[40:41], s[30:31]
	s_mov_b32 s18, s22
	s_mov_b32 s22, s23
	;; [unrolled: 1-line block ×3, first 2 shown]
	v_pk_add_f32 v[122:123], v[122:123], v[126:127]
	v_pk_fma_f32 v[36:37], v[86:87], s[16:17], v[36:37]
	v_pk_add_f32 v[30:31], v[30:31], v[32:33]
	v_mul_f32_e32 v114, 0x3f65296c, v42
	v_pk_fma_f32 v[130:131], v[90:91], s[34:35], v[40:41] neg_lo:[0,0,1] neg_hi:[0,0,1]
	s_mov_b32 s19, s12
	v_pk_mul_f32 v[42:43], v[42:43], s[22:23]
	v_pk_add_f32 v[122:123], v[122:123], v[128:129]
	s_mov_b32 s6, 0x3f4c4adb
	v_pk_fma_f32 v[38:39], v[88:89], s[36:37], v[38:39]
	v_pk_add_f32 v[30:31], v[30:31], v[36:37]
	v_mul_f32_e32 v116, 0xbf763a35, v34
	v_pk_fma_f32 v[134:135], v[94:95], s[18:19], v[42:43] neg_lo:[0,0,1] neg_hi:[0,0,1]
	v_pk_add_f32 v[122:123], v[122:123], v[130:131]
	s_mov_b32 s15, s25
	v_pk_mul_f32 v[34:35], v[34:35], s[6:7]
	v_pk_fma_f32 v[40:41], v[90:91], s[34:35], v[40:41]
	v_pk_add_f32 v[30:31], v[30:31], v[38:39]
	v_pk_add_f32 v[122:123], v[122:123], v[134:135]
	v_pk_fma_f32 v[126:127], v[92:93], s[14:15], v[34:35] neg_lo:[0,0,1] neg_hi:[0,0,1]
	s_mov_b32 s6, s29
	s_mov_b32 s7, s2
	v_pk_fma_f32 v[42:43], v[94:95], s[18:19], v[42:43]
	v_pk_add_f32 v[30:31], v[30:31], v[40:41]
	v_pk_add_f32 v[122:123], v[122:123], v[126:127]
	s_mov_b32 s1, s14
	v_pk_mul_f32 v[126:127], v[26:27], s[6:7]
	v_pk_add_f32 v[30:31], v[30:31], v[42:43]
	v_pk_fma_f32 v[32:33], v[92:93], s[14:15], v[34:35]
	v_pk_add_f32 v[42:43], v[110:111], v[66:67] neg_lo:[0,1] neg_hi:[0,1]
	v_pk_add_f32 v[30:31], v[30:31], v[32:33]
	v_pk_fma_f32 v[32:33], v[96:97], s[0:1], v[126:127]
	v_pk_add_f32 v[42:43], v[82:83], v[42:43]
	v_pk_add_f32 v[30:31], v[30:31], v[32:33]
	v_pk_add_f32 v[32:33], v[100:101], v[68:69] neg_lo:[0,1] neg_hi:[0,1]
	v_pk_add_f32 v[34:35], v[102:103], v[70:71] neg_lo:[0,1] neg_hi:[0,1]
	v_pk_add_f32 v[32:33], v[42:43], v[32:33]
	v_pk_add_f32 v[36:37], v[104:105], v[72:73] neg_lo:[0,1] neg_hi:[0,1]
	v_pk_add_f32 v[32:33], v[32:33], v[34:35]
	;; [unrolled: 2-line block ×5, first 2 shown]
	v_mul_f32_e32 v24, 0xbf59a7d5, v49
	v_pk_add_f32 v[32:33], v[32:33], v[34:35]
	v_pk_add_f32 v[34:35], v[20:21], v[22:23] neg_lo:[0,1] neg_hi:[0,1]
	v_pk_add_f32 v[20:21], v[20:21], v[22:23]
	v_mul_f32_e32 v44, 0x3f3d2fb0, v51
	v_mov_b32_e32 v35, v20
	v_pk_add_f32 v[20:21], v[24:25], v[28:29] neg_lo:[0,1] neg_hi:[0,1]
	v_pk_add_f32 v[22:23], v[24:25], v[28:29]
	v_mul_f32_e32 v50, 0xbf1a4643, v53
	v_pk_add_f32 v[6:7], v[6:7], v[80:81] neg_lo:[0,1] neg_hi:[0,1]
	v_mov_b32_e32 v21, v22
	v_pk_add_f32 v[22:23], v[44:45], v[48:49] neg_lo:[0,1] neg_hi:[0,1]
	v_pk_add_f32 v[24:25], v[44:45], v[48:49]
	v_mul_f32_e32 v54, 0x3ee437d1, v55
	v_pk_add_f32 v[6:7], v[32:33], v[6:7]
	v_mul_f32_e32 v32, 0x3dbcf732, v29
	v_mov_b32_e32 v23, v24
	v_pk_add_f32 v[24:25], v[50:51], v[52:53] neg_lo:[0,1] neg_hi:[0,1]
	v_pk_add_f32 v[28:29], v[50:51], v[52:53]
	v_mul_f32_e32 v18, 0xbf7ba420, v113
	v_mov_b32_e32 v25, v28
	v_pk_add_f32 v[28:29], v[54:55], v[114:115] neg_lo:[0,1] neg_hi:[0,1]
	v_pk_add_f32 v[36:37], v[54:55], v[114:115]
	v_add_f32_e32 v9, v9, v5
	v_mov_b32_e32 v29, v36
	v_pk_add_f32 v[36:37], v[18:19], v[4:5] neg_lo:[0,1] neg_hi:[0,1]
	v_pk_add_f32 v[4:5], v[18:19], v[4:5]
	v_mul_f32_e32 v112, 0xbe8c1d8e, v45
	v_mov_b32_e32 v37, v4
	v_pk_add_f32 v[4:5], v[82:83], v[36:37]
	v_pk_add_f32 v[18:19], v[112:113], v[116:117] neg_lo:[0,1] neg_hi:[0,1]
	v_pk_add_f32 v[4:5], v[4:5], v[34:35]
	v_mul_f32_e32 v26, 0x3f7ee86f, v26
	v_pk_add_f32 v[4:5], v[4:5], v[20:21]
	v_pk_add_f32 v[20:21], v[112:113], v[116:117]
	;; [unrolled: 1-line block ×3, first 2 shown]
	v_mov_b32_e32 v19, v20
	v_pk_add_f32 v[4:5], v[4:5], v[24:25]
	v_pk_add_f32 v[20:21], v[32:33], v[26:27]
	;; [unrolled: 1-line block ×3, first 2 shown]
	v_pk_fma_f32 v[128:129], v[96:97], s[0:1], v[126:127] neg_lo:[0,0,1] neg_hi:[0,0,1]
	v_pk_add_f32 v[4:5], v[4:5], v[18:19]
	v_pk_add_f32 v[18:19], v[32:33], v[26:27] neg_lo:[0,1] neg_hi:[0,1]
	v_lshl_add_u32 v13, v120, 6, v3
	v_mov_b32_e32 v19, v20
	v_pk_add_f32 v[122:123], v[122:123], v[128:129]
	v_pk_add_f32 v[4:5], v[4:5], v[18:19]
	ds_write2_b32 v13, v46, v47 offset1:1
	ds_write2_b32 v13, v124, v125 offset0:2 offset1:3
	ds_write2_b32 v13, v122, v123 offset0:4 offset1:5
	;; [unrolled: 1-line block ×7, first 2 shown]
	ds_write_b32 v13, v9 offset:64
.LBB0_15:
	s_or_b64 exec, exec, s[20:21]
	s_movk_i32 s0, 0xf1
	v_mul_lo_u16_sdwa v4, v120, s0 dst_sel:DWORD dst_unused:UNUSED_PAD src0_sel:BYTE_0 src1_sel:DWORD
	v_lshrrev_b16_e32 v80, 12, v4
	v_mul_lo_u16_e32 v4, 17, v80
	v_sub_u16_e32 v81, v120, v4
	v_mov_b32_e32 v4, 9
	v_mul_u32_u24_sdwa v4, v81, v4 dst_sel:DWORD dst_unused:UNUSED_PAD src0_sel:BYTE_0 src1_sel:DWORD
	v_lshlrev_b32_e32 v4, 3, v4
	s_waitcnt lgkmcnt(0)
	s_barrier
	global_load_dwordx4 v[18:21], v4, s[4:5]
	global_load_dwordx4 v[24:27], v4, s[4:5] offset:16
	global_load_dwordx4 v[38:41], v4, s[4:5] offset:32
	global_load_dwordx3 v[34:36], v4, s[4:5] offset:48
	global_load_dwordx3 v[42:44], v4, s[4:5] offset:60
	ds_read2_b32 v[6:7], v3 offset1:187
	ds_read2_b32 v[4:5], v8 offset0:54 offset1:241
	ds_read2_b32 v[12:13], v12 offset0:44 offset1:231
	;; [unrolled: 1-line block ×4, first 2 shown]
	v_mov_b32_e32 v30, v60
	s_waitcnt lgkmcnt(3)
	v_mov_b32_e32 v28, v4
	s_waitcnt lgkmcnt(2)
	v_mov_b32_e32 v29, v12
	v_mov_b32_e32 v31, v58
	s_waitcnt lgkmcnt(0)
	v_mov_b32_e32 v46, v16
	v_mov_b32_e32 v47, v14
	;; [unrolled: 1-line block ×5, first 2 shown]
	s_mov_b32 s1, 0x3f737871
	s_mov_b32 s0, 0x3e9e377a
	v_mov_b32_e32 v8, 0x3f737871
	s_mov_b32 s2, 0.5
	s_mov_b32 s3, 0x3f167918
	v_mov_b32_e32 v49, v8
	s_mov_b32 s10, s1
	s_mov_b32 s6, s1
	;; [unrolled: 1-line block ×3, first 2 shown]
	s_barrier
	s_waitcnt vmcnt(4)
	v_mov_b32_e32 v22, v21
	s_waitcnt vmcnt(3)
	v_mov_b32_e32 v48, v26
	s_waitcnt vmcnt(2)
	v_mul_f32_e32 v10, v64, v41
	v_mov_b32_e32 v73, v26
	v_mov_b32_e32 v26, v21
	v_mul_f32_e32 v52, v58, v27
	v_mov_b32_e32 v72, v20
	v_mov_b32_e32 v37, v40
	v_fma_f32 v21, v14, v40, -v10
	v_pk_mul_f32 v[26:27], v[28:29], v[26:27]
	s_waitcnt vmcnt(0)
	v_mov_b32_e32 v40, v42
	v_pk_fma_f32 v[30:31], v[30:31], v[72:73], v[26:27]
	v_pk_mul_f32 v[26:27], v[46:47], v[40:41]
	v_mov_b32_e32 v23, v24
	v_mul_f32_e32 v55, v15, v35
	v_pk_mul_f32 v[68:69], v[62:63], v[42:43]
	v_mov_b32_e32 v70, v36
	v_mov_b32_e32 v71, v44
	v_pk_fma_f32 v[32:33], v[32:33], v[36:37], v[26:27]
	v_mov_b32_e32 v66, v20
	v_mov_b32_e32 v67, v25
	v_mov_b32_e32 v74, v39
	v_mov_b32_e32 v75, v25
	v_mov_b32_e32 v62, v65
	v_mov_b32_e32 v76, v35
	v_mov_b32_e32 v77, v44
	v_fmac_f32_e32 v55, v65, v34
	v_pk_mul_f32 v[64:65], v[60:61], v[22:23]
	v_pk_fma_f32 v[78:79], v[16:17], v[70:71], v[68:69] neg_lo:[0,0,1] neg_hi:[0,0,1]
	v_pk_fma_f32 v[22:23], v[16:17], v[70:71], v[68:69]
	v_mov_b32_e32 v60, v59
	v_pk_add_f32 v[26:27], v[30:31], v[30:31] op_sel:[0,1] op_sel_hi:[1,0] neg_lo:[0,1] neg_hi:[0,1]
	v_pk_add_f32 v[68:69], v[32:33], v[32:33] op_sel:[0,1] op_sel_hi:[1,0] neg_lo:[0,1] neg_hi:[0,1]
	v_pk_mul_f32 v[62:63], v[62:63], v[76:77]
	v_pk_fma_f32 v[28:29], v[4:5], v[66:67], v[64:65] neg_lo:[0,0,1] neg_hi:[0,0,1]
	v_pk_fma_f32 v[64:65], v[4:5], v[66:67], v[64:65]
	v_pk_mul_f32 v[46:47], v[60:61], v[74:75]
	v_mov_b32_e32 v4, v13
	v_pk_add_f32 v[68:69], v[26:27], v[68:69]
	v_mov_b32_e32 v26, v38
	v_mov_b32_e32 v27, v24
	;; [unrolled: 1-line block ×4, first 2 shown]
	v_pk_fma_f32 v[24:25], v[4:5], v[26:27], v[46:47] neg_lo:[0,0,1] neg_hi:[0,0,1]
	v_pk_fma_f32 v[26:27], v[16:17], v[34:35], v[62:63] neg_lo:[0,0,1] neg_hi:[0,0,1]
	v_pk_add_f32 v[36:37], v[30:31], v[32:33]
	v_pk_add_f32 v[4:5], v[24:25], v[26:27] neg_lo:[0,1] neg_hi:[0,1]
	v_mov_b32_e32 v15, v26
	v_mul_f32_e32 v14, 0x3f167918, v4
	v_mov_b32_e32 v5, v24
	v_mov_b32_e32 v17, v4
	v_pk_add_f32 v[4:5], v[4:5], v[24:25] neg_lo:[0,1] neg_hi:[0,1]
	v_pk_add_f32 v[34:35], v[14:15], v[26:27] neg_lo:[0,1] neg_hi:[0,1]
	v_pk_fma_f32 v[72:73], v[36:37], 0.5, v[56:57] op_sel_hi:[1,0,0] neg_lo:[1,0,0] neg_hi:[1,0,0]
	v_mov_b32_e32 v36, v31
	v_mov_b32_e32 v37, v5
	;; [unrolled: 1-line block ×4, first 2 shown]
	v_pk_add_f32 v[36:37], v[36:37], v[46:47] neg_lo:[0,1] neg_hi:[0,1]
	v_pk_add_f32 v[4:5], v[4:5], v[34:35]
	v_mov_b32_e32 v16, v12
	v_mov_b32_e32 v37, v5
	;; [unrolled: 1-line block ×7, first 2 shown]
	v_pk_mul_f32 v[12:13], v[12:13], v[38:39]
	v_mul_f32_e32 v51, v57, v19
	v_pk_fma_f32 v[12:13], v[58:59], v[4:5], v[12:13]
	v_mov_b32_e32 v5, v55
	v_add_f32_e32 v4, v13, v55
	v_mul_f32_e32 v4, 0.5, v4
	v_mov_b32_e32 v9, v18
	v_pk_add_f32 v[18:19], v[12:13], v[4:5] neg_lo:[0,1] neg_hi:[0,1]
	v_mov_b32_e32 v4, v13
	v_mov_b32_e32 v38, v65
	;; [unrolled: 1-line block ×5, first 2 shown]
	v_pk_add_f32 v[4:5], v[4:5], v[38:39] neg_lo:[0,1] neg_hi:[0,1]
	v_pk_add_f32 v[60:61], v[28:29], v[22:23]
	v_pk_add_f32 v[66:67], v[28:29], v[22:23] neg_lo:[0,1] neg_hi:[0,1]
	v_mov_b32_e32 v29, v4
	v_mov_b32_e32 v44, v78
	v_pk_add_f32 v[4:5], v[28:29], v[4:5]
	v_mov_b32_e32 v46, v13
	v_mov_b32_e32 v39, v5
	v_pk_mul_f32 v[4:5], v[4:5], v[44:45]
	v_mov_b32_e32 v44, v65
	v_mov_b32_e32 v45, v25
	;; [unrolled: 1-line block ×3, first 2 shown]
	v_pk_add_f32 v[44:45], v[44:45], v[46:47] neg_lo:[0,1] neg_hi:[0,1]
	v_mov_b32_e32 v46, v23
	v_mov_b32_e32 v47, v27
	v_mov_b32_e32 v74, v55
	v_mov_b32_e32 v75, v26
	v_mov_b32_e32 v64, v30
	v_pk_add_f32 v[46:47], v[46:47], v[74:75] neg_lo:[0,1] neg_hi:[0,1]
	v_mov_b32_e32 v57, v12
	v_pk_add_f32 v[74:75], v[44:45], v[46:47]
	v_pk_add_f32 v[44:45], v[56:57], v[64:65]
	v_mov_b32_e32 v46, v31
	v_mov_b32_e32 v47, v13
	;; [unrolled: 1-line block ×3, first 2 shown]
	v_pk_add_f32 v[44:45], v[44:45], v[46:47]
	v_mov_b32_e32 v41, v23
	v_mov_b32_e32 v40, v32
	v_mul_f32_e32 v10, 0.5, v61
	v_pk_add_f32 v[44:45], v[44:45], v[54:55]
	v_mov_b32_e32 v58, v27
	v_pk_add_f32 v[54:55], v[44:45], v[40:41]
	v_mov_b32_e32 v40, v25
	v_mov_b32_e32 v41, v12
	;; [unrolled: 1-line block ×3, first 2 shown]
	v_pk_mul_f32 v[42:43], v[16:17], s[0:1]
	v_pk_add_f32 v[12:13], v[40:41], v[58:59] neg_lo:[0,1] neg_hi:[0,1]
	v_mov_b32_e32 v42, 0x3f167918
	v_mov_b32_e32 v53, v13
	;; [unrolled: 1-line block ×3, first 2 shown]
	v_pk_mul_f32 v[70:71], v[66:67], s[2:3]
	v_mov_b32_e32 v50, v18
	v_mov_b32_e32 v56, v67
	;; [unrolled: 1-line block ×4, first 2 shown]
	v_pk_mul_f32 v[58:59], v[12:13], v[8:9]
	v_pk_mul_f32 v[64:65], v[12:13], v[42:43]
	v_pk_add_f32 v[66:67], v[12:13], v[42:43] neg_lo:[0,1] neg_hi:[0,1]
	v_pk_fma_f32 v[46:47], v[16:17], v[48:49], v[52:53] neg_lo:[0,0,1] neg_hi:[0,0,1]
	v_pk_fma_f32 v[12:13], v[16:17], v[48:49], v[12:13]
	v_pk_add_f32 v[62:63], v[24:25], v[26:27]
	v_mov_b32_e32 v47, v13
	v_pk_fma_f32 v[12:13], v[40:41], v[8:9], v[50:51] neg_lo:[0,0,1] neg_hi:[0,0,1]
	v_pk_fma_f32 v[8:9], v[40:41], v[8:9], v[18:19]
	v_mov_b32_e32 v57, v19
	v_mov_b32_e32 v9, v13
	v_pk_fma_f32 v[12:13], v[62:63], 0.5, v[12:13] op_sel:[0,0,1] op_sel_hi:[1,0,1] neg_lo:[1,0,0] neg_hi:[1,0,0]
	v_mov_b32_e32 v38, v21
	v_pk_fma_f32 v[16:17], v[56:57], s[10:11], v[12:13] op_sel_hi:[1,0,1] neg_lo:[1,0,0] neg_hi:[1,0,0]
	v_pk_add_f32 v[38:39], v[38:39], v[78:79] neg_lo:[0,1] neg_hi:[0,1]
	v_mov_b32_e32 v7, v17
	v_mov_b32_e32 v29, v64
	v_pk_fma_f32 v[44:45], v[60:61], s[2:3], v[6:7] neg_lo:[1,0,0] neg_hi:[1,0,0]
	v_pk_fma_f32 v[40:41], v[60:61], s[2:3], v[16:17]
	v_mov_b32_e32 v39, v5
	v_mov_b32_e32 v65, v67
	v_mov_b32_e32 v45, v41
	v_pk_add_f32 v[40:41], v[46:47], v[28:29] neg_lo:[0,1] neg_hi:[0,1]
	v_mov_b32_e32 v10, v67
	v_mov_b32_e32 v15, v25
	v_pk_mul_f32 v[76:77], v[74:75], s[0:1] op_sel_hi:[1,0]
	v_pk_add_f32 v[38:39], v[40:41], v[38:39]
	v_pk_add_f32 v[40:41], v[64:65], v[10:11]
	v_mov_b32_e32 v10, v5
	v_pk_add_f32 v[52:53], v[10:11], v[40:41]
	v_pk_add_f32 v[8:9], v[8:9], v[14:15]
	v_mov_b32_e32 v40, v76
	v_mov_b32_e32 v41, v24
	;; [unrolled: 1-line block ×3, first 2 shown]
	v_pk_add_f32 v[40:41], v[8:9], v[40:41]
	v_pk_fma_f32 v[8:9], v[56:57], s[10:11], v[12:13] op_sel_hi:[1,0,1]
	v_pk_add_f32 v[42:43], v[18:19], v[58:59] neg_lo:[0,1] neg_hi:[0,1]
	v_mov_b32_e32 v15, v8
	v_pk_add_f32 v[12:13], v[42:43], v[14:15] neg_lo:[0,1] neg_hi:[0,1]
	v_pk_fma_f32 v[14:15], v[18:19], v[58:59], v[14:15]
	v_mov_b32_e32 v20, v78
	v_pk_mul_f32 v[48:49], v[18:19], v[58:59]
	v_mov_b32_e32 v13, v15
	v_mov_b32_e32 v29, v46
	v_pk_fma_f32 v[42:43], v[74:75], s[0:1], v[12:13] op_sel_hi:[1,0,1]
	v_mov_b32_e32 v17, v9
	v_mov_b32_e32 v70, v49
	v_pk_add_f32 v[12:13], v[28:29], v[20:21] neg_lo:[0,1] neg_hi:[0,1]
	s_mov_b32 s2, s3
	v_pk_add_f32 v[8:9], v[16:17], v[70:71] neg_lo:[0,1] neg_hi:[0,1]
	v_pk_mul_f32 v[14:15], v[12:13], s[2:3] op_sel_hi:[1,0]
	v_pk_fma_f32 v[16:17], v[12:13], s[10:11], v[72:73] op_sel:[0,0,1] op_sel_hi:[1,0,0] neg_lo:[1,0,0] neg_hi:[1,0,0]
	v_pk_fma_f32 v[12:13], v[12:13], s[10:11], v[72:73] op_sel:[0,0,1] op_sel_hi:[1,0,0]
	v_pk_mul_f32 v[34:35], v[36:37], s[6:7]
	v_mov_b32_e32 v19, v13
	v_mov_b32_e32 v13, v17
	;; [unrolled: 1-line block ×3, first 2 shown]
	v_pk_add_f32 v[12:13], v[14:15], v[12:13] op_sel:[1,0] op_sel_hi:[0,1]
	v_pk_add_f32 v[18:19], v[18:19], v[14:15] op_sel:[0,1] op_sel_hi:[1,0] neg_lo:[0,1] neg_hi:[0,1]
	v_pk_fma_f32 v[24:25], v[68:69], s[0:1], v[12:13] op_sel_hi:[1,0,1]
	v_pk_fma_f32 v[50:51], v[36:37], s[6:7], v[44:45]
	v_mov_b32_e32 v12, v77
	v_mov_b32_e32 v13, v35
	v_pk_fma_f32 v[18:19], v[68:69], s[0:1], v[18:19] op_sel_hi:[1,0,1]
	v_pk_add_f32 v[48:49], v[12:13], v[8:9]
	v_mov_b32_e32 v12, v43
	v_mov_b32_e32 v13, v51
	s_mov_b32 s0, s3
	v_mov_b32_e32 v8, v42
	v_mov_b32_e32 v9, v39
	s_mov_b32 s6, 0x3f4f1bbd
	v_pk_mul_f32 v[12:13], v[12:13], s[0:1]
	s_mov_b32 s2, 0xbf4f1bbd
	v_pk_fma_f32 v[14:15], v[8:9], s[6:7], v[12:13] neg_lo:[0,0,1] neg_hi:[0,0,1]
	v_mov_b32_e32 v8, v40
	v_mov_b32_e32 v9, v52
	s_mov_b32 s3, 0xbe9e377a
	v_pk_mul_f32 v[12:13], v[48:49], s[0:1]
	v_mov_b32_e32 v7, 2
	v_pk_fma_f32 v[56:57], v[8:9], s[2:3], v[12:13] neg_lo:[0,0,1] neg_hi:[0,0,1]
	v_add_f32_e32 v4, v54, v55
	v_pk_add_f32 v[16:17], v[18:19], v[14:15]
	v_mov_b32_e32 v12, v54
	v_mov_b32_e32 v13, v18
	;; [unrolled: 1-line block ×8, first 2 shown]
	v_mul_u32_u24_e32 v5, 0x2a8, v80
	v_lshlrev_b32_sdwa v7, v7, v81 dst_sel:DWORD dst_unused:UNUSED_PAD src0_sel:DWORD src1_sel:BYTE_0
	s_movk_i32 s0, 0xaa
	s_movk_i32 s2, 0xa9
	v_pk_add_f32 v[8:9], v[24:25], v[56:57]
	v_pk_add_f32 v[12:13], v[12:13], v[54:55] neg_lo:[0,1] neg_hi:[0,1]
	v_pk_add_f32 v[14:15], v[18:19], v[14:15] neg_lo:[0,1] neg_hi:[0,1]
	v_sub_f32_e32 v25, v24, v56
	v_add3_u32 v10, 0, v5, v7
	v_cmp_gt_u32_e64 s[0:1], s0, v120
	v_cmp_lt_u32_e64 s[2:3], s2, v120
	v_mov_b32_e32 v23, v26
	ds_write2_b32 v10, v4, v16 offset1:17
	ds_write2_b32 v10, v17, v9 offset0:34 offset1:51
	ds_write2_b32 v10, v8, v12 offset0:68 offset1:85
	;; [unrolled: 1-line block ×4, first 2 shown]
	s_waitcnt lgkmcnt(0)
	s_barrier
	s_waitcnt lgkmcnt(0)
                                        ; implicit-def: $vgpr18_vgpr19
	s_and_saveexec_b64 s[6:7], s[2:3]
	s_xor_b64 s[6:7], exec, s[6:7]
; %bb.16:
	v_mov_b64_e32 v[18:19], v[16:17]
; %bb.17:
	s_andn2_saveexec_b64 s[6:7], s[6:7]
	s_cbranch_execz .LBB0_19
; %bb.18:
	v_add_u32_e32 v2, 0x400, v3
	ds_read2_b32 v[8:9], v2 offset0:84 offset1:254
	v_add_u32_e32 v2, 0xa00, v3
	ds_read2_b32 v[12:13], v2 offset0:40 offset1:210
	v_add_u32_e32 v2, 0xf00, v3
	ds_read2_b32 v[4:5], v3 offset1:170
	ds_read2_b32 v[14:15], v2 offset0:60 offset1:230
	v_add_u32_e32 v2, 0x1400, v3
	ds_read2_b32 v[24:25], v2 offset0:80 offset1:250
	ds_read_b32 v2, v3 offset:6800
	s_waitcnt lgkmcnt(5)
	v_mov_b32_e32 v19, v8
	s_waitcnt lgkmcnt(3)
	v_mov_b32_e32 v18, v5
	v_mov_b32_e32 v8, v12
	;; [unrolled: 1-line block ×3, first 2 shown]
	s_waitcnt lgkmcnt(2)
	v_mov_b32_e32 v13, v14
	v_mov_b32_e32 v14, v15
	s_waitcnt lgkmcnt(1)
	v_mov_b32_e32 v15, v24
	v_mov_b32_e32 v16, v5
.LBB0_19:
	s_or_b64 exec, exec, s[6:7]
	v_mov_b32_e32 v29, v22
	v_mov_b32_e32 v47, v21
	v_add_f32_e32 v7, v6, v28
	v_pk_add_f32 v[28:29], v[28:29], v[46:47] neg_lo:[0,1] neg_hi:[0,1]
	s_mov_b32 s6, 0x3f167918
	v_mov_b32_e32 v20, v29
	v_add_f32_e32 v33, v7, v46
	v_add_f32_e32 v7, v46, v21
	v_pk_add_f32 v[28:29], v[28:29], v[20:21]
	v_sub_f32_e32 v17, v30, v32
	s_mov_b32 s7, 0x3f4f1bbd
	v_fmac_f32_e32 v6, -0.5, v7
	v_mov_b32_e32 v29, v36
	s_mov_b32 s10, 0x3e9e377a
	s_mov_b32 s11, s6
	v_pk_mul_f32 v[28:29], v[28:29], s[10:11]
	v_fmamk_f32 v7, v17, 0x3f737871, v6
	v_mov_b32_e32 v32, v29
	v_add_f32_e32 v7, v29, v7
	v_fmamk_f32 v20, v17, 0xbf737871, v6
	v_mov_b32_e32 v5, v26
	v_add_f32_e32 v29, v28, v7
	v_pk_add_f32 v[6:7], v[20:21], v[32:33]
	v_pk_add_f32 v[20:21], v[20:21], v[32:33] neg_lo:[0,1] neg_hi:[0,1]
	v_mul_f32_e32 v46, 0x3f737871, v52
	v_mov_b32_e32 v52, v28
	v_mov_b32_e32 v53, v22
	;; [unrolled: 1-line block ×3, first 2 shown]
	v_pk_add_f32 v[6:7], v[40:41], v[4:5]
	v_pk_add_f32 v[32:33], v[20:21], v[52:53]
	v_mov_b32_e32 v21, v27
	v_pk_add_f32 v[26:27], v[6:7], v[26:27]
	v_pk_mul_f32 v[6:7], v[42:43], s[6:7]
	s_mov_b32 s11, 0x3f737871
	v_mul_f32_e32 v20, 0x3f4f1bbd, v48
	v_mov_b32_e32 v6, v7
	v_mul_f32_e32 v30, 0x3f167918, v17
	v_pk_mul_f32 v[36:37], v[38:39], s[10:11]
	v_sub_f32_e32 v23, v44, v34
	v_pk_fma_f32 v[34:35], v[40:41], s[6:7], v[20:21] neg_lo:[0,0,1] neg_hi:[0,0,1]
	v_pk_fma_f32 v[6:7], v[42:43], s[6:7], v[6:7]
	s_mov_b32 s7, s10
	v_mov_b32_e32 v31, 0x3e9e377a
	v_fmac_f32_e32 v23, 0x3f167918, v17
	v_pk_add_f32 v[20:21], v[50:51], v[30:31] neg_lo:[0,1] neg_hi:[0,1]
	v_pk_mul_f32 v[30:31], v[50:51], s[6:7]
	v_mul_f32_e32 v22, 0x3e9e377a, v49
	v_mov_b32_e32 v47, v36
	v_mov_b32_e32 v21, v31
	v_pk_add_f32 v[36:37], v[46:47], v[22:23] neg_lo:[0,1] neg_hi:[0,1]
	v_pk_add_f32 v[40:41], v[46:47], v[22:23]
	v_pk_fma_f32 v[38:39], v[38:39], s[10:11], v[20:21]
	v_mov_b32_e32 v37, v41
	v_mov_b32_e32 v35, v27
	v_pk_add_f32 v[20:21], v[38:39], v[36:37]
	v_sub_f32_e32 v31, v33, v27
	v_mov_b32_e32 v28, v41
	v_mov_b32_e32 v26, v39
	v_mov_b32_e32 v27, v6
	v_mov_b32_e32 v39, v32
	v_mov_b32_e32 v37, v34
	v_add_f32_e32 v7, v29, v6
	v_pk_add_f32 v[22:23], v[32:33], v[34:35]
	v_pk_add_f32 v[28:29], v[28:29], v[26:27] neg_lo:[0,1] neg_hi:[0,1]
	v_pk_add_f32 v[26:27], v[38:39], v[36:37] neg_lo:[0,1] neg_hi:[0,1]
	s_waitcnt lgkmcnt(0)
	s_barrier
	ds_write2_b32 v10, v23, v7 offset1:17
	ds_write2_b32 v10, v21, v20 offset0:34 offset1:51
	ds_write2_b32 v10, v22, v31 offset0:68 offset1:85
	;; [unrolled: 1-line block ×4, first 2 shown]
	s_waitcnt lgkmcnt(0)
	s_barrier
	s_and_saveexec_b64 s[6:7], s[2:3]
	s_xor_b64 s[2:3], exec, s[6:7]
	s_cbranch_execnz .LBB0_23
; %bb.20:
	s_andn2_saveexec_b64 s[2:3], s[2:3]
	s_cbranch_execnz .LBB0_24
.LBB0_21:
	s_or_b64 exec, exec, s[2:3]
	s_and_b64 s[0:1], vcc, s[0:1]
	s_and_saveexec_b64 s[2:3], s[0:1]
	s_cbranch_execnz .LBB0_25
.LBB0_22:
	s_endpgm
.LBB0_23:
                                        ; implicit-def: $vgpr3
	s_andn2_saveexec_b64 s[2:3], s[2:3]
	s_cbranch_execz .LBB0_21
.LBB0_24:
	v_add_u32_e32 v5, 0x400, v3
	ds_read2_b32 v[28:29], v5 offset0:84 offset1:254
	v_add_u32_e32 v5, 0xa00, v3
	ds_read2_b32 v[30:31], v5 offset0:40 offset1:210
	v_add_u32_e32 v5, 0xf00, v3
	ds_read2_b32 v[6:7], v3 offset1:170
	ds_read2_b32 v[32:33], v5 offset0:60 offset1:230
	v_add_u32_e32 v5, 0x1400, v3
	ds_read2_b32 v[26:27], v5 offset0:80 offset1:250
	ds_read_b32 v11, v3 offset:6800
	s_waitcnt lgkmcnt(4)
	v_mov_b32_e32 v22, v30
	s_waitcnt lgkmcnt(3)
	v_mov_b32_e32 v23, v6
	v_mov_b32_e32 v20, v29
	;; [unrolled: 1-line block ×3, first 2 shown]
	s_waitcnt lgkmcnt(2)
	v_mov_b32_e32 v28, v33
	v_mov_b32_e32 v29, v32
	s_or_b64 exec, exec, s[2:3]
	s_and_b64 s[0:1], vcc, s[0:1]
	s_and_saveexec_b64 s[2:3], s[0:1]
	s_cbranch_execz .LBB0_22
.LBB0_25:
	v_mul_u32_u24_e32 v3, 10, v120
	v_lshlrev_b32_e32 v3, 3, v3
	global_load_dwordx4 v[32:35], v3, s[4:5] offset:1224
	global_load_dwordx4 v[36:39], v3, s[4:5] offset:1288
	;; [unrolled: 1-line block ×5, first 2 shown]
	v_mad_u64_u32 v[52:53], s[0:1], s8, v120, 0
	s_waitcnt lgkmcnt(0)
	v_mov_b32_e32 v6, v11
	v_add_u32_e32 v3, 0xaa, v120
	v_add_u32_e32 v11, 0x154, v120
	v_mov_b32_e32 v30, v53
	v_mad_u64_u32 v[54:55], s[0:1], s8, v3, 0
	v_mad_u64_u32 v[56:57], s[0:1], s8, v11, 0
	v_mov_b32_e32 v24, v31
	v_mad_u64_u32 v[30:31], s[0:1], s9, v120, v[30:31]
	v_mov_b32_e32 v58, v55
	v_mov_b32_e32 v60, v57
	;; [unrolled: 1-line block ×3, first 2 shown]
	v_mad_u64_u32 v[30:31], s[0:1], s9, v3, v[58:59]
	v_mad_u64_u32 v[58:59], s[0:1], s9, v11, v[60:61]
	v_mov_b32_e32 v10, v25
	v_mov_b32_e32 v55, v30
	;; [unrolled: 1-line block ×4, first 2 shown]
	v_lshl_add_u64 v[52:53], v[52:53], 3, v[0:1]
	v_lshl_add_u64 v[54:55], v[54:55], 3, v[0:1]
	s_mov_b32 s16, 0x3f575c64
	s_mov_b32 s17, 0xbf0a6770
	;; [unrolled: 1-line block ×28, first 2 shown]
	s_waitcnt vmcnt(4)
	v_mul_f32_e32 v30, v7, v33
	v_mul_f32_e32 v3, v16, v33
	s_waitcnt vmcnt(3)
	v_pk_mul_f32 v[58:59], v[6:7], v[38:39] op_sel_hi:[0,1]
	v_pk_mul_f32 v[60:61], v[26:27], v[36:37] op_sel:[1,0]
	v_mov_b32_e32 v62, v35
	v_mov_b32_e32 v63, v34
	v_pk_mul_f32 v[18:19], v[18:19], v[34:35] op_sel:[1,0]
	s_waitcnt vmcnt(1)
	v_pk_mul_f32 v[34:35], v[20:21], v[44:45] op_sel_hi:[0,1]
	v_pk_mul_f32 v[22:23], v[22:23], v[46:47] op_sel_hi:[0,1]
	v_fmac_f32_e32 v30, v16, v32
	v_fma_f32 v31, v7, v32, -v3
	v_pk_fma_f32 v[16:17], v[2:3], v[38:39], v[58:59] op_sel:[0,0,1] op_sel_hi:[0,1,0]
	v_pk_fma_f32 v[38:39], v[2:3], v[38:39], v[58:59] op_sel:[0,0,1] op_sel_hi:[0,1,0] neg_lo:[1,0,0] neg_hi:[1,0,0]
	v_pk_fma_f32 v[58:59], v[10:11], v[36:37], v[60:61] op_sel:[0,0,1] op_sel_hi:[0,1,0]
	v_pk_fma_f32 v[60:61], v[10:11], v[36:37], v[60:61] op_sel:[0,0,1] op_sel_hi:[0,1,0] neg_lo:[1,0,0] neg_hi:[1,0,0]
	v_pk_fma_f32 v[36:37], v[20:21], v[62:63], v[18:19] op_sel:[1,0,0]
	v_pk_fma_f32 v[18:19], v[20:21], v[62:63], v[18:19] op_sel:[1,0,0] neg_lo:[0,0,1] neg_hi:[0,0,1]
	v_pk_mul_f32 v[64:65], v[28:29], v[40:41] op_sel_hi:[0,1]
	s_waitcnt vmcnt(0)
	v_pk_mul_f32 v[28:29], v[28:29], v[50:51] op_sel:[1,0]
	v_pk_mul_f32 v[24:25], v[24:25], v[48:49] op_sel_hi:[0,1]
	v_pk_fma_f32 v[62:63], v[8:9], v[44:45], v[34:35] op_sel:[1,0,1] op_sel_hi:[1,1,0]
	v_pk_fma_f32 v[44:45], v[8:9], v[44:45], v[34:35] op_sel:[1,0,1] op_sel_hi:[1,1,0] neg_lo:[1,0,0] neg_hi:[1,0,0]
	v_pk_fma_f32 v[68:69], v[8:9], v[46:47], v[22:23] op_sel:[0,0,1] op_sel_hi:[0,1,0]
	v_pk_fma_f32 v[22:23], v[8:9], v[46:47], v[22:23] op_sel:[0,0,1] op_sel_hi:[0,1,0] neg_lo:[1,0,0] neg_hi:[1,0,0]
	v_mov_b32_e32 v8, v36
	v_mov_b32_e32 v9, v19
	v_pk_add_f32 v[34:35], v[4:5], v[30:31]
	v_pk_mul_f32 v[26:27], v[26:27], v[42:43] op_sel_hi:[0,1]
	v_pk_fma_f32 v[46:47], v[12:13], v[50:51], v[28:29] op_sel:[1,0,1] op_sel_hi:[1,1,0]
	v_pk_fma_f32 v[50:51], v[12:13], v[50:51], v[28:29] op_sel:[1,0,1] op_sel_hi:[1,1,0] neg_lo:[1,0,0] neg_hi:[1,0,0]
	v_pk_fma_f32 v[70:71], v[12:13], v[48:49], v[24:25] op_sel:[0,0,1] op_sel_hi:[0,1,0]
	v_pk_fma_f32 v[24:25], v[12:13], v[48:49], v[24:25] op_sel:[0,0,1] op_sel_hi:[0,1,0] neg_lo:[1,0,0] neg_hi:[1,0,0]
	v_mov_b32_e32 v12, v62
	v_mov_b32_e32 v13, v45
	v_pk_add_f32 v[8:9], v[34:35], v[8:9]
	v_pk_fma_f32 v[20:21], v[14:15], v[42:43], v[26:27] op_sel:[1,0,1] op_sel_hi:[1,1,0]
	v_pk_fma_f32 v[42:43], v[14:15], v[42:43], v[26:27] op_sel:[1,0,1] op_sel_hi:[1,1,0] neg_lo:[1,0,0] neg_hi:[1,0,0]
	v_mov_b32_e32 v26, v68
	v_mov_b32_e32 v27, v23
	v_pk_add_f32 v[8:9], v[8:9], v[12:13]
	v_mov_b32_e32 v32, v70
	v_mov_b32_e32 v33, v25
	v_pk_add_f32 v[8:9], v[8:9], v[26:27]
	v_pk_fma_f32 v[66:67], v[14:15], v[40:41], v[64:65] op_sel:[0,0,1] op_sel_hi:[0,1,0]
	v_pk_fma_f32 v[64:65], v[14:15], v[40:41], v[64:65] op_sel:[0,0,1] op_sel_hi:[0,1,0] neg_lo:[1,0,0] neg_hi:[1,0,0]
	v_mov_b32_e32 v28, v46
	v_mov_b32_e32 v29, v51
	v_pk_add_f32 v[8:9], v[8:9], v[32:33]
	v_mov_b32_e32 v14, v66
	v_mov_b32_e32 v15, v65
	v_pk_add_f32 v[8:9], v[8:9], v[28:29]
	;; [unrolled: 3-line block ×5, first 2 shown]
	v_add_u32_e32 v9, 0x3fc, v120
	v_pk_add_f32 v[2:3], v[2:3], v[6:7]
	v_add_u32_e32 v7, 0x1fe, v120
	global_store_dwordx2 v[52:53], v[2:3], off
	v_mad_u64_u32 v[2:3], s[0:1], s8, v7, 0
	v_mov_b32_e32 v6, v3
	v_mad_u64_u32 v[6:7], s[0:1], s9, v7, v[6:7]
	v_mov_b32_e32 v3, v6
	v_add_u32_e32 v7, 0x2a8, v120
	v_lshl_add_u64 v[28:29], v[2:3], 3, v[0:1]
	v_mad_u64_u32 v[2:3], s[0:1], s8, v7, 0
	v_mov_b32_e32 v6, v3
	v_mad_u64_u32 v[6:7], s[0:1], s9, v7, v[6:7]
	v_mov_b32_e32 v3, v6
	v_add_u32_e32 v7, 0x352, v120
	v_lshl_add_u64 v[14:15], v[2:3], 3, v[0:1]
	v_mad_u64_u32 v[2:3], s[0:1], s8, v7, 0
	v_mov_b32_e32 v6, v3
	v_mad_u64_u32 v[6:7], s[0:1], s9, v7, v[6:7]
	v_mov_b32_e32 v3, v6
	;; [unrolled: 2-line block ×3, first 2 shown]
	v_mad_u64_u32 v[8:9], s[0:1], s9, v9, v[8:9]
	v_add_u32_e32 v11, 0x4a6, v120
	v_mov_b32_e32 v7, v8
	v_mad_u64_u32 v[8:9], s[0:1], s8, v11, 0
	v_mov_b32_e32 v10, v9
	v_mad_u64_u32 v[10:11], s[0:1], s9, v11, v[10:11]
	v_add_u32_e32 v13, 0x550, v120
	v_mov_b32_e32 v9, v10
	v_mad_u64_u32 v[10:11], s[0:1], s8, v13, 0
	v_mov_b32_e32 v12, v11
	;; [unrolled: 5-line block ×4, first 2 shown]
	v_mad_u64_u32 v[32:33], s[0:1], s9, v33, v[32:33]
	v_mov_b32_e32 v27, v32
	v_lshl_add_u64 v[48:49], v[56:57], 3, v[0:1]
	v_lshl_add_u64 v[2:3], v[2:3], 3, v[0:1]
	;; [unrolled: 1-line block ×7, first 2 shown]
	v_pk_add_f32 v[26:27], v[30:31], v[16:17]
	v_pk_add_f32 v[16:17], v[30:31], v[16:17] neg_lo:[0,1] neg_hi:[0,1]
	v_mov_b32_e32 v30, v31
	v_mov_b32_e32 v27, v16
	;; [unrolled: 1-line block ×3, first 2 shown]
	v_pk_add_f32 v[32:33], v[16:17], v[38:39] op_sel:[0,1] neg_lo:[0,1] neg_hi:[0,1]
	v_pk_add_f32 v[16:17], v[30:31], v[38:39] op_sel_hi:[0,1]
	v_pk_add_f32 v[30:31], v[36:37], v[58:59]
	v_pk_add_f32 v[34:35], v[36:37], v[58:59] neg_lo:[0,1] neg_hi:[0,1]
	v_pk_add_f32 v[40:41], v[44:45], v[42:43] neg_lo:[0,1] neg_hi:[0,1]
	v_mov_b32_e32 v31, v34
	v_pk_add_f32 v[34:35], v[62:63], v[20:21]
	v_pk_add_f32 v[20:21], v[62:63], v[20:21] neg_lo:[0,1] neg_hi:[0,1]
	v_pk_add_f32 v[38:39], v[68:69], v[66:67]
	v_mov_b32_e32 v35, v20
	v_pk_add_f32 v[20:21], v[44:45], v[42:43]
	v_pk_add_f32 v[42:43], v[68:69], v[66:67] neg_lo:[0,1] neg_hi:[0,1]
	v_mov_b32_e32 v16, v32
	v_mov_b32_e32 v39, v42
	v_pk_add_f32 v[42:43], v[70:71], v[46:47]
	v_pk_add_f32 v[46:47], v[70:71], v[46:47] neg_lo:[0,1] neg_hi:[0,1]
	v_pk_add_f32 v[36:37], v[18:19], v[60:61] neg_lo:[0,1] neg_hi:[0,1]
	v_pk_add_f32 v[18:19], v[18:19], v[60:61]
	v_mov_b32_e32 v43, v46
	v_pk_add_f32 v[46:47], v[24:25], v[50:51] neg_lo:[0,1] neg_hi:[0,1]
	v_pk_add_f32 v[24:25], v[24:25], v[50:51]
	v_pk_mul_f32 v[50:51], v[26:27], s[16:17]
	v_mov_b32_e32 v18, v37
	v_pk_add_f32 v[44:45], v[22:23], v[64:65] neg_lo:[0,1] neg_hi:[0,1]
	v_pk_add_f32 v[22:23], v[22:23], v[64:65]
	v_pk_mul_f32 v[52:53], v[30:31], s[2:3]
	v_pk_fma_f32 v[62:63], v[32:33], s[12:13], v[50:51] neg_lo:[1,0,0] neg_hi:[1,0,0]
	v_pk_fma_f32 v[64:65], v[16:17], s[12:13], v[50:51]
	v_pk_fma_f32 v[66:67], v[36:37], s[24:25], v[52:53] op_sel:[1,0,0] neg_lo:[1,0,0] neg_hi:[1,0,0]
	v_mov_b32_e32 v63, v65
	v_pk_fma_f32 v[68:69], v[18:19], s[24:25], v[52:53]
	v_mov_b32_e32 v20, v41
	v_pk_mul_f32 v[56:57], v[34:35], s[4:5]
	s_mov_b32 s0, s5
	s_mov_b32 s1, s4
	v_pk_add_f32 v[62:63], v[4:5], v[62:63]
	v_mov_b32_e32 v67, v69
	v_pk_add_f32 v[62:63], v[62:63], v[66:67]
	v_pk_fma_f32 v[66:67], v[40:41], s[0:1], v[56:57] op_sel:[1,0,0] neg_lo:[1,0,0] neg_hi:[1,0,0]
	v_pk_fma_f32 v[70:71], v[20:21], s[0:1], v[56:57]
	v_pk_fma_f32 v[50:51], v[16:17], s[12:13], v[50:51] neg_lo:[0,0,1] neg_hi:[0,0,1]
	v_mov_b32_e32 v22, v45
	v_pk_mul_f32 v[58:59], v[38:39], s[10:11]
	v_mov_b32_e32 v67, v71
	v_mov_b32_e32 v65, v51
	v_pk_fma_f32 v[52:53], v[18:19], s[24:25], v[52:53] neg_lo:[0,0,1] neg_hi:[0,0,1]
	v_pk_add_f32 v[62:63], v[62:63], v[66:67]
	v_pk_fma_f32 v[66:67], v[44:45], s[6:7], v[58:59] op_sel:[1,0,0] neg_lo:[1,0,0] neg_hi:[1,0,0]
	v_pk_fma_f32 v[72:73], v[22:23], s[6:7], v[58:59]
	v_pk_add_f32 v[50:51], v[4:5], v[64:65]
	v_mov_b32_e32 v69, v53
	v_pk_fma_f32 v[52:53], v[20:21], s[0:1], v[56:57] neg_lo:[0,0,1] neg_hi:[0,0,1]
	v_mov_b32_e32 v24, v47
	v_pk_mul_f32 v[60:61], v[42:43], s[14:15]
	s_mov_b32 s8, s15
	s_mov_b32 s9, s14
	v_mov_b32_e32 v67, v73
	v_pk_add_f32 v[50:51], v[50:51], v[68:69]
	v_mov_b32_e32 v71, v53
	v_pk_fma_f32 v[52:53], v[22:23], s[6:7], v[58:59] neg_lo:[0,0,1] neg_hi:[0,0,1]
	v_pk_add_f32 v[62:63], v[62:63], v[66:67]
	v_pk_fma_f32 v[66:67], v[46:47], s[8:9], v[60:61] op_sel:[1,0,0] neg_lo:[1,0,0] neg_hi:[1,0,0]
	v_pk_fma_f32 v[74:75], v[24:25], s[8:9], v[60:61]
	v_pk_add_f32 v[50:51], v[50:51], v[70:71]
	v_mov_b32_e32 v73, v53
	v_pk_fma_f32 v[52:53], v[24:25], s[8:9], v[60:61] neg_lo:[0,0,1] neg_hi:[0,0,1]
	v_mov_b32_e32 v67, v75
	v_pk_add_f32 v[50:51], v[50:51], v[72:73]
	v_mov_b32_e32 v75, v53
	v_pk_add_f32 v[50:51], v[50:51], v[74:75]
	global_store_dwordx2 v[54:55], v[50:51], off
	v_pk_mul_f32 v[50:51], v[26:27], s[2:3]
	v_pk_mul_f32 v[52:53], v[30:31], s[10:11]
	v_pk_fma_f32 v[60:61], v[32:33], s[24:25], v[50:51] neg_lo:[1,0,0] neg_hi:[1,0,0]
	v_pk_fma_f32 v[64:65], v[16:17], s[24:25], v[50:51]
	v_pk_add_f32 v[62:63], v[62:63], v[66:67]
	v_mov_b32_e32 v61, v65
	v_pk_fma_f32 v[66:67], v[36:37], s[6:7], v[52:53] op_sel:[1,0,0] neg_lo:[1,0,0] neg_hi:[1,0,0]
	v_pk_fma_f32 v[68:69], v[18:19], s[6:7], v[52:53]
	v_pk_mul_f32 v[54:55], v[34:35], s[30:31]
	v_pk_add_f32 v[60:61], v[4:5], v[60:61]
	v_mov_b32_e32 v67, v69
	v_pk_add_f32 v[60:61], v[60:61], v[66:67]
	v_pk_fma_f32 v[66:67], v[40:41], s[28:29], v[54:55] op_sel:[1,0,0] neg_lo:[1,0,0] neg_hi:[1,0,0]
	v_pk_fma_f32 v[70:71], v[20:21], s[28:29], v[54:55]
	v_pk_fma_f32 v[50:51], v[16:17], s[24:25], v[50:51] neg_lo:[0,0,1] neg_hi:[0,0,1]
	v_pk_mul_f32 v[56:57], v[38:39], s[26:27]
	v_mov_b32_e32 v67, v71
	v_mov_b32_e32 v65, v51
	v_pk_fma_f32 v[52:53], v[18:19], s[6:7], v[52:53] neg_lo:[0,0,1] neg_hi:[0,0,1]
	v_pk_add_f32 v[60:61], v[60:61], v[66:67]
	v_pk_fma_f32 v[66:67], v[44:45], s[22:23], v[56:57] op_sel:[1,0,0] neg_lo:[1,0,0] neg_hi:[1,0,0]
	v_pk_fma_f32 v[72:73], v[22:23], s[22:23], v[56:57]
	v_pk_add_f32 v[50:51], v[4:5], v[64:65]
	v_mov_b32_e32 v69, v53
	v_pk_fma_f32 v[52:53], v[20:21], s[28:29], v[54:55] neg_lo:[0,0,1] neg_hi:[0,0,1]
	v_pk_mul_f32 v[58:59], v[42:43], s[20:21]
	v_mov_b32_e32 v67, v73
	v_pk_add_f32 v[50:51], v[50:51], v[68:69]
	v_mov_b32_e32 v71, v53
	v_pk_fma_f32 v[52:53], v[22:23], s[22:23], v[56:57] neg_lo:[0,0,1] neg_hi:[0,0,1]
	v_pk_add_f32 v[60:61], v[60:61], v[66:67]
	v_pk_fma_f32 v[66:67], v[46:47], s[18:19], v[58:59] op_sel:[1,0,0] neg_lo:[1,0,0] neg_hi:[1,0,0]
	v_pk_fma_f32 v[74:75], v[24:25], s[18:19], v[58:59]
	v_pk_add_f32 v[50:51], v[50:51], v[70:71]
	v_mov_b32_e32 v73, v53
	v_pk_fma_f32 v[52:53], v[24:25], s[18:19], v[58:59] neg_lo:[0,0,1] neg_hi:[0,0,1]
	v_mov_b32_e32 v67, v75
	v_pk_add_f32 v[50:51], v[50:51], v[72:73]
	v_mov_b32_e32 v75, v53
	v_pk_add_f32 v[50:51], v[50:51], v[74:75]
	global_store_dwordx2 v[48:49], v[50:51], off
	v_pk_mul_f32 v[48:49], v[26:27], s[4:5]
	v_pk_mul_f32 v[54:55], v[30:31], s[30:31]
	v_pk_fma_f32 v[50:51], v[32:33], s[0:1], v[48:49] neg_lo:[1,0,0] neg_hi:[1,0,0]
	v_pk_fma_f32 v[52:53], v[16:17], s[0:1], v[48:49]
	v_pk_fma_f32 v[56:57], v[36:37], s[28:29], v[54:55] op_sel:[1,0,0] neg_lo:[1,0,0] neg_hi:[1,0,0]
	v_mov_b32_e32 v51, v53
	v_pk_fma_f32 v[58:59], v[18:19], s[28:29], v[54:55]
	v_pk_add_f32 v[50:51], v[4:5], v[50:51]
	v_mov_b32_e32 v57, v59
	s_mov_b32 s3, 0x3f68dda4
	v_pk_add_f32 v[50:51], v[50:51], v[56:57]
	v_pk_mul_f32 v[56:57], v[34:35], s[2:3]
	s_mov_b32 s24, s3
	v_pk_add_f32 v[60:61], v[60:61], v[66:67]
	v_pk_fma_f32 v[64:65], v[40:41], s[24:25], v[56:57] op_sel:[1,0,0] neg_lo:[1,0,0] neg_hi:[1,0,0]
	v_pk_fma_f32 v[66:67], v[20:21], s[24:25], v[56:57]
	v_pk_fma_f32 v[48:49], v[16:17], s[0:1], v[48:49] neg_lo:[0,0,1] neg_hi:[0,0,1]
	v_mov_b32_e32 v65, v67
	v_pk_add_f32 v[50:51], v[50:51], v[64:65]
	v_pk_mul_f32 v[64:65], v[38:39], s[16:17]
	v_mov_b32_e32 v53, v49
	v_pk_fma_f32 v[68:69], v[44:45], s[12:13], v[64:65] op_sel:[1,0,0] neg_lo:[1,0,0] neg_hi:[1,0,0]
	v_pk_fma_f32 v[70:71], v[22:23], s[12:13], v[64:65]
	v_pk_add_f32 v[48:49], v[4:5], v[52:53]
	v_pk_fma_f32 v[52:53], v[18:19], s[28:29], v[54:55] neg_lo:[0,0,1] neg_hi:[0,0,1]
	v_mov_b32_e32 v69, v71
	v_mov_b32_e32 v59, v53
	v_pk_fma_f32 v[52:53], v[20:21], s[24:25], v[56:57] neg_lo:[0,0,1] neg_hi:[0,0,1]
	v_pk_add_f32 v[50:51], v[50:51], v[68:69]
	v_pk_mul_f32 v[68:69], v[42:43], s[10:11]
	v_pk_add_f32 v[48:49], v[48:49], v[58:59]
	v_mov_b32_e32 v67, v53
	v_pk_fma_f32 v[52:53], v[22:23], s[12:13], v[64:65] neg_lo:[0,0,1] neg_hi:[0,0,1]
	v_pk_fma_f32 v[72:73], v[46:47], s[6:7], v[68:69] op_sel:[1,0,0] neg_lo:[1,0,0] neg_hi:[1,0,0]
	v_pk_fma_f32 v[74:75], v[24:25], s[6:7], v[68:69]
	v_pk_add_f32 v[48:49], v[48:49], v[66:67]
	v_mov_b32_e32 v71, v53
	v_pk_fma_f32 v[52:53], v[24:25], s[6:7], v[68:69] neg_lo:[0,0,1] neg_hi:[0,0,1]
	v_mov_b32_e32 v73, v75
	v_pk_add_f32 v[48:49], v[48:49], v[70:71]
	v_mov_b32_e32 v75, v53
	v_pk_add_f32 v[48:49], v[48:49], v[74:75]
	global_store_dwordx2 v[28:29], v[48:49], off
	v_pk_mul_f32 v[28:29], v[26:27], s[10:11]
	v_pk_mul_f32 v[54:55], v[30:31], s[26:27]
	v_pk_fma_f32 v[48:49], v[32:33], s[6:7], v[28:29] neg_lo:[1,0,0] neg_hi:[1,0,0]
	v_pk_fma_f32 v[52:53], v[16:17], s[6:7], v[28:29]
	v_pk_fma_f32 v[56:57], v[36:37], s[22:23], v[54:55] op_sel:[1,0,0] neg_lo:[1,0,0] neg_hi:[1,0,0]
	v_mov_b32_e32 v49, v53
	v_pk_fma_f32 v[58:59], v[18:19], s[22:23], v[54:55]
	v_pk_add_f32 v[48:49], v[4:5], v[48:49]
	v_mov_b32_e32 v57, v59
	v_pk_add_f32 v[48:49], v[48:49], v[56:57]
	v_pk_mul_f32 v[56:57], v[34:35], s[16:17]
	v_pk_fma_f32 v[28:29], v[16:17], s[6:7], v[28:29] neg_lo:[0,0,1] neg_hi:[0,0,1]
	v_pk_fma_f32 v[64:65], v[40:41], s[12:13], v[56:57] op_sel:[1,0,0] neg_lo:[1,0,0] neg_hi:[1,0,0]
	v_pk_fma_f32 v[66:67], v[20:21], s[12:13], v[56:57]
	v_mov_b32_e32 v53, v29
	v_mov_b32_e32 v65, v67
	v_pk_add_f32 v[48:49], v[48:49], v[64:65]
	v_pk_mul_f32 v[64:65], v[38:39], s[14:15]
	v_pk_add_f32 v[28:29], v[4:5], v[52:53]
	v_pk_fma_f32 v[68:69], v[44:45], s[8:9], v[64:65] op_sel:[1,0,0] neg_lo:[1,0,0] neg_hi:[1,0,0]
	v_pk_fma_f32 v[70:71], v[22:23], s[8:9], v[64:65]
	v_pk_fma_f32 v[52:53], v[18:19], s[22:23], v[54:55] neg_lo:[0,0,1] neg_hi:[0,0,1]
	v_mov_b32_e32 v69, v71
	v_mov_b32_e32 v59, v53
	v_pk_fma_f32 v[52:53], v[20:21], s[12:13], v[56:57] neg_lo:[0,0,1] neg_hi:[0,0,1]
	v_pk_add_f32 v[48:49], v[48:49], v[68:69]
	v_pk_mul_f32 v[68:69], v[42:43], s[2:3]
	v_pk_add_f32 v[28:29], v[28:29], v[58:59]
	v_mov_b32_e32 v67, v53
	v_pk_fma_f32 v[52:53], v[22:23], s[8:9], v[64:65] neg_lo:[0,0,1] neg_hi:[0,0,1]
	v_pk_add_f32 v[50:51], v[50:51], v[72:73]
	v_pk_fma_f32 v[72:73], v[46:47], s[24:25], v[68:69] op_sel:[1,0,0] neg_lo:[1,0,0] neg_hi:[1,0,0]
	v_pk_fma_f32 v[74:75], v[24:25], s[24:25], v[68:69]
	v_pk_add_f32 v[28:29], v[28:29], v[66:67]
	v_mov_b32_e32 v71, v53
	v_pk_fma_f32 v[52:53], v[24:25], s[24:25], v[68:69] neg_lo:[0,0,1] neg_hi:[0,0,1]
	v_mov_b32_e32 v73, v75
	v_pk_add_f32 v[28:29], v[28:29], v[70:71]
	v_mov_b32_e32 v75, v53
	v_pk_add_f32 v[28:29], v[28:29], v[74:75]
	global_store_dwordx2 v[14:15], v[28:29], off
	v_pk_mul_f32 v[14:15], v[26:27], s[14:15]
	v_pk_mul_f32 v[30:31], v[30:31], s[20:21]
	v_pk_fma_f32 v[26:27], v[32:33], s[8:9], v[14:15] neg_lo:[1,0,0] neg_hi:[1,0,0]
	v_pk_fma_f32 v[28:29], v[16:17], s[8:9], v[14:15]
	v_pk_fma_f32 v[32:33], v[36:37], s[18:19], v[30:31] op_sel:[1,0,0] neg_lo:[1,0,0] neg_hi:[1,0,0]
	v_mov_b32_e32 v27, v29
	v_pk_fma_f32 v[36:37], v[18:19], s[18:19], v[30:31]
	v_pk_add_f32 v[26:27], v[4:5], v[26:27]
	v_mov_b32_e32 v33, v37
	v_pk_add_f32 v[26:27], v[26:27], v[32:33]
	v_pk_mul_f32 v[32:33], v[34:35], s[10:11]
	v_pk_fma_f32 v[14:15], v[16:17], s[8:9], v[14:15] neg_lo:[0,0,1] neg_hi:[0,0,1]
	v_pk_fma_f32 v[34:35], v[40:41], s[6:7], v[32:33] op_sel:[1,0,0] neg_lo:[1,0,0] neg_hi:[1,0,0]
	v_pk_fma_f32 v[40:41], v[20:21], s[6:7], v[32:33]
	v_mov_b32_e32 v29, v15
	v_mov_b32_e32 v35, v41
	v_pk_add_f32 v[26:27], v[26:27], v[34:35]
	v_pk_mul_f32 v[34:35], v[38:39], s[2:3]
	v_pk_fma_f32 v[14:15], v[18:19], s[18:19], v[30:31] neg_lo:[0,0,1] neg_hi:[0,0,1]
	v_pk_fma_f32 v[38:39], v[44:45], s[24:25], v[34:35] op_sel:[1,0,0] neg_lo:[1,0,0] neg_hi:[1,0,0]
	v_pk_fma_f32 v[44:45], v[22:23], s[24:25], v[34:35]
	v_pk_add_f32 v[4:5], v[4:5], v[28:29]
	v_mov_b32_e32 v39, v45
	v_mov_b32_e32 v37, v15
	v_pk_fma_f32 v[14:15], v[20:21], s[6:7], v[32:33] neg_lo:[0,0,1] neg_hi:[0,0,1]
	v_pk_add_f32 v[26:27], v[26:27], v[38:39]
	v_pk_mul_f32 v[38:39], v[42:43], s[4:5]
	v_pk_add_f32 v[4:5], v[4:5], v[36:37]
	v_mov_b32_e32 v41, v15
	v_pk_fma_f32 v[14:15], v[22:23], s[24:25], v[34:35] neg_lo:[0,0,1] neg_hi:[0,0,1]
	v_pk_fma_f32 v[42:43], v[46:47], s[0:1], v[38:39] op_sel:[1,0,0] neg_lo:[1,0,0] neg_hi:[1,0,0]
	v_pk_fma_f32 v[46:47], v[24:25], s[0:1], v[38:39]
	v_pk_add_f32 v[4:5], v[4:5], v[40:41]
	v_mov_b32_e32 v45, v15
	v_pk_fma_f32 v[14:15], v[24:25], s[0:1], v[38:39] neg_lo:[0,0,1] neg_hi:[0,0,1]
	v_mov_b32_e32 v43, v47
	v_pk_add_f32 v[4:5], v[4:5], v[44:45]
	v_mov_b32_e32 v47, v15
	v_pk_add_f32 v[4:5], v[4:5], v[46:47]
	v_pk_add_f32 v[48:49], v[48:49], v[72:73]
	v_pk_add_f32 v[26:27], v[26:27], v[42:43]
	global_store_dwordx2 v[2:3], v[4:5], off
	global_store_dwordx2 v[6:7], v[26:27], off
	;; [unrolled: 1-line block ×6, first 2 shown]
	s_endpgm
	.section	.rodata,"a",@progbits
	.p2align	6, 0x0
	.amdhsa_kernel fft_rtc_back_len1870_factors_17_10_11_wgs_187_tpt_187_halfLds_sp_ip_CI_sbrr_dirReg
		.amdhsa_group_segment_fixed_size 0
		.amdhsa_private_segment_fixed_size 0
		.amdhsa_kernarg_size 88
		.amdhsa_user_sgpr_count 2
		.amdhsa_user_sgpr_dispatch_ptr 0
		.amdhsa_user_sgpr_queue_ptr 0
		.amdhsa_user_sgpr_kernarg_segment_ptr 1
		.amdhsa_user_sgpr_dispatch_id 0
		.amdhsa_user_sgpr_kernarg_preload_length 0
		.amdhsa_user_sgpr_kernarg_preload_offset 0
		.amdhsa_user_sgpr_private_segment_size 0
		.amdhsa_uses_dynamic_stack 0
		.amdhsa_enable_private_segment 0
		.amdhsa_system_sgpr_workgroup_id_x 1
		.amdhsa_system_sgpr_workgroup_id_y 0
		.amdhsa_system_sgpr_workgroup_id_z 0
		.amdhsa_system_sgpr_workgroup_info 0
		.amdhsa_system_vgpr_workitem_id 0
		.amdhsa_next_free_vgpr 160
		.amdhsa_next_free_sgpr 58
		.amdhsa_accum_offset 160
		.amdhsa_reserve_vcc 1
		.amdhsa_float_round_mode_32 0
		.amdhsa_float_round_mode_16_64 0
		.amdhsa_float_denorm_mode_32 3
		.amdhsa_float_denorm_mode_16_64 3
		.amdhsa_dx10_clamp 1
		.amdhsa_ieee_mode 1
		.amdhsa_fp16_overflow 0
		.amdhsa_tg_split 0
		.amdhsa_exception_fp_ieee_invalid_op 0
		.amdhsa_exception_fp_denorm_src 0
		.amdhsa_exception_fp_ieee_div_zero 0
		.amdhsa_exception_fp_ieee_overflow 0
		.amdhsa_exception_fp_ieee_underflow 0
		.amdhsa_exception_fp_ieee_inexact 0
		.amdhsa_exception_int_div_zero 0
	.end_amdhsa_kernel
	.text
.Lfunc_end0:
	.size	fft_rtc_back_len1870_factors_17_10_11_wgs_187_tpt_187_halfLds_sp_ip_CI_sbrr_dirReg, .Lfunc_end0-fft_rtc_back_len1870_factors_17_10_11_wgs_187_tpt_187_halfLds_sp_ip_CI_sbrr_dirReg
                                        ; -- End function
	.section	.AMDGPU.csdata,"",@progbits
; Kernel info:
; codeLenInByte = 12900
; NumSgprs: 64
; NumVgprs: 160
; NumAgprs: 0
; TotalNumVgprs: 160
; ScratchSize: 0
; MemoryBound: 0
; FloatMode: 240
; IeeeMode: 1
; LDSByteSize: 0 bytes/workgroup (compile time only)
; SGPRBlocks: 7
; VGPRBlocks: 19
; NumSGPRsForWavesPerEU: 64
; NumVGPRsForWavesPerEU: 160
; AccumOffset: 160
; Occupancy: 3
; WaveLimiterHint : 1
; COMPUTE_PGM_RSRC2:SCRATCH_EN: 0
; COMPUTE_PGM_RSRC2:USER_SGPR: 2
; COMPUTE_PGM_RSRC2:TRAP_HANDLER: 0
; COMPUTE_PGM_RSRC2:TGID_X_EN: 1
; COMPUTE_PGM_RSRC2:TGID_Y_EN: 0
; COMPUTE_PGM_RSRC2:TGID_Z_EN: 0
; COMPUTE_PGM_RSRC2:TIDIG_COMP_CNT: 0
; COMPUTE_PGM_RSRC3_GFX90A:ACCUM_OFFSET: 39
; COMPUTE_PGM_RSRC3_GFX90A:TG_SPLIT: 0
	.text
	.p2alignl 6, 3212836864
	.fill 256, 4, 3212836864
	.type	__hip_cuid_dca72343cbdf0b9f,@object ; @__hip_cuid_dca72343cbdf0b9f
	.section	.bss,"aw",@nobits
	.globl	__hip_cuid_dca72343cbdf0b9f
__hip_cuid_dca72343cbdf0b9f:
	.byte	0                               ; 0x0
	.size	__hip_cuid_dca72343cbdf0b9f, 1

	.ident	"AMD clang version 19.0.0git (https://github.com/RadeonOpenCompute/llvm-project roc-6.4.0 25133 c7fe45cf4b819c5991fe208aaa96edf142730f1d)"
	.section	".note.GNU-stack","",@progbits
	.addrsig
	.addrsig_sym __hip_cuid_dca72343cbdf0b9f
	.amdgpu_metadata
---
amdhsa.kernels:
  - .agpr_count:     0
    .args:
      - .actual_access:  read_only
        .address_space:  global
        .offset:         0
        .size:           8
        .value_kind:     global_buffer
      - .offset:         8
        .size:           8
        .value_kind:     by_value
      - .actual_access:  read_only
        .address_space:  global
        .offset:         16
        .size:           8
        .value_kind:     global_buffer
      - .actual_access:  read_only
        .address_space:  global
        .offset:         24
        .size:           8
        .value_kind:     global_buffer
      - .offset:         32
        .size:           8
        .value_kind:     by_value
      - .actual_access:  read_only
        .address_space:  global
        .offset:         40
        .size:           8
        .value_kind:     global_buffer
      - .actual_access:  read_only
        .address_space:  global
        .offset:         48
        .size:           8
        .value_kind:     global_buffer
      - .offset:         56
        .size:           4
        .value_kind:     by_value
      - .actual_access:  read_only
        .address_space:  global
        .offset:         64
        .size:           8
        .value_kind:     global_buffer
      - .actual_access:  read_only
        .address_space:  global
        .offset:         72
        .size:           8
        .value_kind:     global_buffer
      - .address_space:  global
        .offset:         80
        .size:           8
        .value_kind:     global_buffer
    .group_segment_fixed_size: 0
    .kernarg_segment_align: 8
    .kernarg_segment_size: 88
    .language:       OpenCL C
    .language_version:
      - 2
      - 0
    .max_flat_workgroup_size: 187
    .name:           fft_rtc_back_len1870_factors_17_10_11_wgs_187_tpt_187_halfLds_sp_ip_CI_sbrr_dirReg
    .private_segment_fixed_size: 0
    .sgpr_count:     64
    .sgpr_spill_count: 0
    .symbol:         fft_rtc_back_len1870_factors_17_10_11_wgs_187_tpt_187_halfLds_sp_ip_CI_sbrr_dirReg.kd
    .uniform_work_group_size: 1
    .uses_dynamic_stack: false
    .vgpr_count:     160
    .vgpr_spill_count: 0
    .wavefront_size: 64
amdhsa.target:   amdgcn-amd-amdhsa--gfx950
amdhsa.version:
  - 1
  - 2
...

	.end_amdgpu_metadata
